;; amdgpu-corpus repo=ROCm/rocBLAS kind=compiled arch=gfx1250 opt=O3
	.amdgcn_target "amdgcn-amd-amdhsa--gfx1250"
	.amdhsa_code_object_version 6
	.section	.text._ZL22rocblas_sscal_2_kernelILi256EDF16_DF16_PKDF16_PDF16_EviT2_lT3_lli,"axG",@progbits,_ZL22rocblas_sscal_2_kernelILi256EDF16_DF16_PKDF16_PDF16_EviT2_lT3_lli,comdat
	.globl	_ZL22rocblas_sscal_2_kernelILi256EDF16_DF16_PKDF16_PDF16_EviT2_lT3_lli ; -- Begin function _ZL22rocblas_sscal_2_kernelILi256EDF16_DF16_PKDF16_PDF16_EviT2_lT3_lli
	.p2align	8
	.type	_ZL22rocblas_sscal_2_kernelILi256EDF16_DF16_PKDF16_PDF16_EviT2_lT3_lli,@function
_ZL22rocblas_sscal_2_kernelILi256EDF16_DF16_PKDF16_PDF16_EviT2_lT3_lli: ; @_ZL22rocblas_sscal_2_kernelILi256EDF16_DF16_PKDF16_PDF16_EviT2_lT3_lli
; %bb.0:
	s_load_b32 s12, s[0:1], 0x30
	s_bfe_u32 s2, ttmp6, 0x40014
	s_lshr_b32 s3, ttmp7, 16
	s_add_co_i32 s2, s2, 1
	s_bfe_u32 s4, ttmp6, 0x40008
	s_mul_i32 s2, s3, s2
	s_getreg_b32 s13, hwreg(HW_REG_IB_STS2, 6, 4)
	s_add_co_i32 s4, s4, s2
	s_cmp_eq_u32 s13, 0
	s_cselect_b32 s2, s3, s4
	s_mov_b32 s3, 0
	s_wait_kmcnt 0x0
	s_cmp_ge_u32 s2, s12
	s_cbranch_scc1 .LBB0_9
; %bb.1:
	s_clause 0x2
	s_load_b128 s[4:7], s[0:1], 0x20
	s_load_b32 s16, s[0:1], 0x0
	s_load_b64 s[14:15], s[0:1], 0x18
	s_bfe_u32 s17, ttmp6, 0x4000c
	s_load_b128 s[8:11], s[0:1], 0x8
	s_add_co_i32 s17, s17, 1
	s_wait_xcnt 0x0
	s_and_b32 s0, ttmp6, 15
	s_mul_i32 s1, ttmp9, s17
	v_lshlrev_b32_e32 v0, 1, v0
	s_add_co_i32 s0, s0, s1
	s_wait_kmcnt 0x0
	s_lshl_b64 s[4:5], s[4:5], 1
	s_cmp_eq_u32 s13, 0
	s_add_nc_u64 s[4:5], s[14:15], s[4:5]
	s_cselect_b32 s0, ttmp9, s0
	s_bitcmp1_b32 s16, 0
	v_lshl_or_b32 v0, s0, 9, v0
	s_cselect_b32 s1, -1, 0
	s_add_co_i32 s0, s16, -1
	s_delay_alu instid0(VALU_DEP_1) | instskip(SKIP_1) | instid1(VALU_DEP_2)
	v_or_b32_e32 v1, 1, v0
	v_cmp_eq_u32_e32 vcc_lo, s0, v0
	v_cmp_gt_u32_e64 s0, s16, v1
	v_mov_b32_e32 v1, 0
	s_and_b32 s1, s1, vcc_lo
	s_branch .LBB0_4
.LBB0_2:                                ;   in Loop: Header=BB0_4 Depth=1
	s_wait_xcnt 0x0
	s_or_b32 exec_lo, exec_lo, s13
.LBB0_3:                                ;   in Loop: Header=BB0_4 Depth=1
	s_add_co_i32 s2, s2, 0x10000
	s_delay_alu instid0(SALU_CYCLE_1)
	s_cmp_lt_u32 s2, s12
	s_cbranch_scc0 .LBB0_9
.LBB0_4:                                ; =>This Inner Loop Header: Depth=1
	s_wait_xcnt 0x0
	s_mul_u64 s[14:15], s[10:11], s[2:3]
	s_delay_alu instid0(SALU_CYCLE_1) | instskip(NEXT) | instid1(SALU_CYCLE_1)
	s_lshl_b64 s[14:15], s[14:15], 1
	s_add_nc_u64 s[14:15], s[8:9], s[14:15]
	global_load_u16 v4, v1, s[14:15]
	s_wait_loadcnt 0x0
	v_cmp_eq_f16_e32 vcc_lo, 1.0, v4
	s_cbranch_vccnz .LBB0_3
; %bb.5:                                ;   in Loop: Header=BB0_4 Depth=1
	s_wait_xcnt 0x0
	s_mul_u64 s[14:15], s[6:7], s[2:3]
	s_delay_alu instid0(SALU_CYCLE_1) | instskip(NEXT) | instid1(SALU_CYCLE_1)
	s_lshl_b64 s[14:15], s[14:15], 1
	s_add_nc_u64 s[14:15], s[4:5], s[14:15]
	s_delay_alu instid0(SALU_CYCLE_1)
	v_lshl_add_u64 v[2:3], v[0:1], 1, s[14:15]
	s_and_saveexec_b32 s13, s0
	s_cbranch_execz .LBB0_7
; %bb.6:                                ;   in Loop: Header=BB0_4 Depth=1
	global_load_b32 v5, v[2:3], off
	s_wait_loadcnt 0x0
	v_pk_mul_f16 v5, v4, v5 op_sel_hi:[0,1]
	global_store_b32 v[2:3], v5, off
.LBB0_7:                                ;   in Loop: Header=BB0_4 Depth=1
	s_wait_xcnt 0x0
	s_or_b32 exec_lo, exec_lo, s13
	s_and_saveexec_b32 s13, s1
	s_cbranch_execz .LBB0_2
; %bb.8:                                ;   in Loop: Header=BB0_4 Depth=1
	global_load_u16 v5, v[2:3], off
	s_wait_loadcnt 0x0
	v_mul_f16_e32 v4, v4, v5
	global_store_b16 v[2:3], v4, off
	s_branch .LBB0_2
.LBB0_9:
	s_endpgm
	.section	.rodata,"a",@progbits
	.p2align	6, 0x0
	.amdhsa_kernel _ZL22rocblas_sscal_2_kernelILi256EDF16_DF16_PKDF16_PDF16_EviT2_lT3_lli
		.amdhsa_group_segment_fixed_size 0
		.amdhsa_private_segment_fixed_size 0
		.amdhsa_kernarg_size 52
		.amdhsa_user_sgpr_count 2
		.amdhsa_user_sgpr_dispatch_ptr 0
		.amdhsa_user_sgpr_queue_ptr 0
		.amdhsa_user_sgpr_kernarg_segment_ptr 1
		.amdhsa_user_sgpr_dispatch_id 0
		.amdhsa_user_sgpr_kernarg_preload_length 0
		.amdhsa_user_sgpr_kernarg_preload_offset 0
		.amdhsa_user_sgpr_private_segment_size 0
		.amdhsa_wavefront_size32 1
		.amdhsa_uses_dynamic_stack 0
		.amdhsa_enable_private_segment 0
		.amdhsa_system_sgpr_workgroup_id_x 1
		.amdhsa_system_sgpr_workgroup_id_y 0
		.amdhsa_system_sgpr_workgroup_id_z 1
		.amdhsa_system_sgpr_workgroup_info 0
		.amdhsa_system_vgpr_workitem_id 0
		.amdhsa_next_free_vgpr 6
		.amdhsa_next_free_sgpr 18
		.amdhsa_named_barrier_count 0
		.amdhsa_reserve_vcc 1
		.amdhsa_float_round_mode_32 0
		.amdhsa_float_round_mode_16_64 0
		.amdhsa_float_denorm_mode_32 3
		.amdhsa_float_denorm_mode_16_64 3
		.amdhsa_fp16_overflow 0
		.amdhsa_memory_ordered 1
		.amdhsa_forward_progress 1
		.amdhsa_inst_pref_size 4
		.amdhsa_round_robin_scheduling 0
		.amdhsa_exception_fp_ieee_invalid_op 0
		.amdhsa_exception_fp_denorm_src 0
		.amdhsa_exception_fp_ieee_div_zero 0
		.amdhsa_exception_fp_ieee_overflow 0
		.amdhsa_exception_fp_ieee_underflow 0
		.amdhsa_exception_fp_ieee_inexact 0
		.amdhsa_exception_int_div_zero 0
	.end_amdhsa_kernel
	.section	.text._ZL22rocblas_sscal_2_kernelILi256EDF16_DF16_PKDF16_PDF16_EviT2_lT3_lli,"axG",@progbits,_ZL22rocblas_sscal_2_kernelILi256EDF16_DF16_PKDF16_PDF16_EviT2_lT3_lli,comdat
.Lfunc_end0:
	.size	_ZL22rocblas_sscal_2_kernelILi256EDF16_DF16_PKDF16_PDF16_EviT2_lT3_lli, .Lfunc_end0-_ZL22rocblas_sscal_2_kernelILi256EDF16_DF16_PKDF16_PDF16_EviT2_lT3_lli
                                        ; -- End function
	.set _ZL22rocblas_sscal_2_kernelILi256EDF16_DF16_PKDF16_PDF16_EviT2_lT3_lli.num_vgpr, 6
	.set _ZL22rocblas_sscal_2_kernelILi256EDF16_DF16_PKDF16_PDF16_EviT2_lT3_lli.num_agpr, 0
	.set _ZL22rocblas_sscal_2_kernelILi256EDF16_DF16_PKDF16_PDF16_EviT2_lT3_lli.numbered_sgpr, 18
	.set _ZL22rocblas_sscal_2_kernelILi256EDF16_DF16_PKDF16_PDF16_EviT2_lT3_lli.num_named_barrier, 0
	.set _ZL22rocblas_sscal_2_kernelILi256EDF16_DF16_PKDF16_PDF16_EviT2_lT3_lli.private_seg_size, 0
	.set _ZL22rocblas_sscal_2_kernelILi256EDF16_DF16_PKDF16_PDF16_EviT2_lT3_lli.uses_vcc, 1
	.set _ZL22rocblas_sscal_2_kernelILi256EDF16_DF16_PKDF16_PDF16_EviT2_lT3_lli.uses_flat_scratch, 0
	.set _ZL22rocblas_sscal_2_kernelILi256EDF16_DF16_PKDF16_PDF16_EviT2_lT3_lli.has_dyn_sized_stack, 0
	.set _ZL22rocblas_sscal_2_kernelILi256EDF16_DF16_PKDF16_PDF16_EviT2_lT3_lli.has_recursion, 0
	.set _ZL22rocblas_sscal_2_kernelILi256EDF16_DF16_PKDF16_PDF16_EviT2_lT3_lli.has_indirect_call, 0
	.section	.AMDGPU.csdata,"",@progbits
; Kernel info:
; codeLenInByte = 412
; TotalNumSgprs: 20
; NumVgprs: 6
; ScratchSize: 0
; MemoryBound: 0
; FloatMode: 240
; IeeeMode: 1
; LDSByteSize: 0 bytes/workgroup (compile time only)
; SGPRBlocks: 0
; VGPRBlocks: 0
; NumSGPRsForWavesPerEU: 20
; NumVGPRsForWavesPerEU: 6
; NamedBarCnt: 0
; Occupancy: 16
; WaveLimiterHint : 0
; COMPUTE_PGM_RSRC2:SCRATCH_EN: 0
; COMPUTE_PGM_RSRC2:USER_SGPR: 2
; COMPUTE_PGM_RSRC2:TRAP_HANDLER: 0
; COMPUTE_PGM_RSRC2:TGID_X_EN: 1
; COMPUTE_PGM_RSRC2:TGID_Y_EN: 0
; COMPUTE_PGM_RSRC2:TGID_Z_EN: 1
; COMPUTE_PGM_RSRC2:TIDIG_COMP_CNT: 0
	.section	.text._ZL22rocblas_sscal_2_kernelILi256EDF16_DF16_DF16_PDF16_EviT2_lT3_lli,"axG",@progbits,_ZL22rocblas_sscal_2_kernelILi256EDF16_DF16_DF16_PDF16_EviT2_lT3_lli,comdat
	.globl	_ZL22rocblas_sscal_2_kernelILi256EDF16_DF16_DF16_PDF16_EviT2_lT3_lli ; -- Begin function _ZL22rocblas_sscal_2_kernelILi256EDF16_DF16_DF16_PDF16_EviT2_lT3_lli
	.p2align	8
	.type	_ZL22rocblas_sscal_2_kernelILi256EDF16_DF16_DF16_PDF16_EviT2_lT3_lli,@function
_ZL22rocblas_sscal_2_kernelILi256EDF16_DF16_DF16_PDF16_EviT2_lT3_lli: ; @_ZL22rocblas_sscal_2_kernelILi256EDF16_DF16_DF16_PDF16_EviT2_lT3_lli
; %bb.0:
	s_load_b32 s10, s[0:1], 0x28
	s_bfe_u32 s2, ttmp6, 0x40014
	s_lshr_b32 s3, ttmp7, 16
	s_add_co_i32 s2, s2, 1
	s_bfe_u32 s4, ttmp6, 0x40008
	s_mul_i32 s2, s3, s2
	s_getreg_b32 s11, hwreg(HW_REG_IB_STS2, 6, 4)
	s_add_co_i32 s4, s4, s2
	s_cmp_eq_u32 s11, 0
	s_cselect_b32 s2, s3, s4
	s_mov_b32 s3, 0
	s_wait_kmcnt 0x0
	s_cmp_ge_u32 s2, s10
	s_cbranch_scc1 .LBB1_9
; %bb.1:
	s_clause 0x1
	s_load_b128 s[4:7], s[0:1], 0x18
	s_load_b64 s[8:9], s[0:1], 0x0
	s_bfe_u32 s12, ttmp6, 0x4000c
	s_and_b32 s14, ttmp6, 15
	s_add_co_i32 s12, s12, 1
	v_dual_mov_b32 v1, 0 :: v_dual_lshlrev_b32 v0, 1, v0
	s_mul_i32 s15, ttmp9, s12
	s_load_b64 s[12:13], s[0:1], 0x10
	s_add_co_i32 s14, s14, s15
	s_wait_kmcnt 0x0
	s_lshl_b64 s[4:5], s[4:5], 1
	s_cmp_eq_u32 s11, 0
	s_cselect_b32 s0, ttmp9, s14
	s_cmp_neq_f16 s9, 0x3c00
	v_lshl_or_b32 v0, s0, 9, v0
	s_add_nc_u64 s[4:5], s[12:13], s[4:5]
	s_cselect_b32 s1, -1, 0
	s_bitcmp1_b32 s8, 0
	s_delay_alu instid0(VALU_DEP_1) | instskip(SKIP_2) | instid1(SALU_CYCLE_1)
	v_or_b32_e32 v2, 1, v0
	s_cselect_b32 s11, -1, 0
	s_add_co_i32 s0, s8, -1
	v_cmp_eq_u32_e32 vcc_lo, s0, v0
	s_delay_alu instid0(VALU_DEP_2)
	v_cmp_gt_u32_e64 s0, s8, v2
	s_and_b32 s8, s11, vcc_lo
	s_pack_ll_b32_b16 s11, s9, s9
	s_branch .LBB1_4
.LBB1_2:                                ;   in Loop: Header=BB1_4 Depth=1
	s_wait_xcnt 0x0
	s_or_b32 exec_lo, exec_lo, s12
.LBB1_3:                                ;   in Loop: Header=BB1_4 Depth=1
	s_add_co_i32 s2, s2, 0x10000
	s_delay_alu instid0(SALU_CYCLE_1)
	s_cmp_lt_u32 s2, s10
	s_cbranch_scc0 .LBB1_9
.LBB1_4:                                ; =>This Inner Loop Header: Depth=1
	s_and_not1_b32 vcc_lo, exec_lo, s1
	s_cbranch_vccnz .LBB1_3
; %bb.5:                                ;   in Loop: Header=BB1_4 Depth=1
	s_mul_u64 s[12:13], s[6:7], s[2:3]
	s_delay_alu instid0(SALU_CYCLE_1) | instskip(NEXT) | instid1(SALU_CYCLE_1)
	s_lshl_b64 s[12:13], s[12:13], 1
	s_add_nc_u64 s[12:13], s[4:5], s[12:13]
	s_delay_alu instid0(SALU_CYCLE_1)
	v_lshl_add_u64 v[2:3], v[0:1], 1, s[12:13]
	s_and_saveexec_b32 s12, s0
	s_cbranch_execz .LBB1_7
; %bb.6:                                ;   in Loop: Header=BB1_4 Depth=1
	global_load_b32 v4, v[2:3], off
	s_wait_loadcnt 0x0
	v_pk_mul_f16 v4, s11, v4
	global_store_b32 v[2:3], v4, off
.LBB1_7:                                ;   in Loop: Header=BB1_4 Depth=1
	s_wait_xcnt 0x0
	s_or_b32 exec_lo, exec_lo, s12
	s_and_saveexec_b32 s12, s8
	s_cbranch_execz .LBB1_2
; %bb.8:                                ;   in Loop: Header=BB1_4 Depth=1
	global_load_u16 v4, v[2:3], off
	s_wait_loadcnt 0x0
	v_mul_f16_e32 v4, s9, v4
	global_store_b16 v[2:3], v4, off
	s_branch .LBB1_2
.LBB1_9:
	s_endpgm
	.section	.rodata,"a",@progbits
	.p2align	6, 0x0
	.amdhsa_kernel _ZL22rocblas_sscal_2_kernelILi256EDF16_DF16_DF16_PDF16_EviT2_lT3_lli
		.amdhsa_group_segment_fixed_size 0
		.amdhsa_private_segment_fixed_size 0
		.amdhsa_kernarg_size 44
		.amdhsa_user_sgpr_count 2
		.amdhsa_user_sgpr_dispatch_ptr 0
		.amdhsa_user_sgpr_queue_ptr 0
		.amdhsa_user_sgpr_kernarg_segment_ptr 1
		.amdhsa_user_sgpr_dispatch_id 0
		.amdhsa_user_sgpr_kernarg_preload_length 0
		.amdhsa_user_sgpr_kernarg_preload_offset 0
		.amdhsa_user_sgpr_private_segment_size 0
		.amdhsa_wavefront_size32 1
		.amdhsa_uses_dynamic_stack 0
		.amdhsa_enable_private_segment 0
		.amdhsa_system_sgpr_workgroup_id_x 1
		.amdhsa_system_sgpr_workgroup_id_y 0
		.amdhsa_system_sgpr_workgroup_id_z 1
		.amdhsa_system_sgpr_workgroup_info 0
		.amdhsa_system_vgpr_workitem_id 0
		.amdhsa_next_free_vgpr 5
		.amdhsa_next_free_sgpr 16
		.amdhsa_named_barrier_count 0
		.amdhsa_reserve_vcc 1
		.amdhsa_float_round_mode_32 0
		.amdhsa_float_round_mode_16_64 0
		.amdhsa_float_denorm_mode_32 3
		.amdhsa_float_denorm_mode_16_64 3
		.amdhsa_fp16_overflow 0
		.amdhsa_memory_ordered 1
		.amdhsa_forward_progress 1
		.amdhsa_inst_pref_size 3
		.amdhsa_round_robin_scheduling 0
		.amdhsa_exception_fp_ieee_invalid_op 0
		.amdhsa_exception_fp_denorm_src 0
		.amdhsa_exception_fp_ieee_div_zero 0
		.amdhsa_exception_fp_ieee_overflow 0
		.amdhsa_exception_fp_ieee_underflow 0
		.amdhsa_exception_fp_ieee_inexact 0
		.amdhsa_exception_int_div_zero 0
	.end_amdhsa_kernel
	.section	.text._ZL22rocblas_sscal_2_kernelILi256EDF16_DF16_DF16_PDF16_EviT2_lT3_lli,"axG",@progbits,_ZL22rocblas_sscal_2_kernelILi256EDF16_DF16_DF16_PDF16_EviT2_lT3_lli,comdat
.Lfunc_end1:
	.size	_ZL22rocblas_sscal_2_kernelILi256EDF16_DF16_DF16_PDF16_EviT2_lT3_lli, .Lfunc_end1-_ZL22rocblas_sscal_2_kernelILi256EDF16_DF16_DF16_PDF16_EviT2_lT3_lli
                                        ; -- End function
	.set _ZL22rocblas_sscal_2_kernelILi256EDF16_DF16_DF16_PDF16_EviT2_lT3_lli.num_vgpr, 5
	.set _ZL22rocblas_sscal_2_kernelILi256EDF16_DF16_DF16_PDF16_EviT2_lT3_lli.num_agpr, 0
	.set _ZL22rocblas_sscal_2_kernelILi256EDF16_DF16_DF16_PDF16_EviT2_lT3_lli.numbered_sgpr, 16
	.set _ZL22rocblas_sscal_2_kernelILi256EDF16_DF16_DF16_PDF16_EviT2_lT3_lli.num_named_barrier, 0
	.set _ZL22rocblas_sscal_2_kernelILi256EDF16_DF16_DF16_PDF16_EviT2_lT3_lli.private_seg_size, 0
	.set _ZL22rocblas_sscal_2_kernelILi256EDF16_DF16_DF16_PDF16_EviT2_lT3_lli.uses_vcc, 1
	.set _ZL22rocblas_sscal_2_kernelILi256EDF16_DF16_DF16_PDF16_EviT2_lT3_lli.uses_flat_scratch, 0
	.set _ZL22rocblas_sscal_2_kernelILi256EDF16_DF16_DF16_PDF16_EviT2_lT3_lli.has_dyn_sized_stack, 0
	.set _ZL22rocblas_sscal_2_kernelILi256EDF16_DF16_DF16_PDF16_EviT2_lT3_lli.has_recursion, 0
	.set _ZL22rocblas_sscal_2_kernelILi256EDF16_DF16_DF16_PDF16_EviT2_lT3_lli.has_indirect_call, 0
	.section	.AMDGPU.csdata,"",@progbits
; Kernel info:
; codeLenInByte = 380
; TotalNumSgprs: 18
; NumVgprs: 5
; ScratchSize: 0
; MemoryBound: 0
; FloatMode: 240
; IeeeMode: 1
; LDSByteSize: 0 bytes/workgroup (compile time only)
; SGPRBlocks: 0
; VGPRBlocks: 0
; NumSGPRsForWavesPerEU: 18
; NumVGPRsForWavesPerEU: 5
; NamedBarCnt: 0
; Occupancy: 16
; WaveLimiterHint : 0
; COMPUTE_PGM_RSRC2:SCRATCH_EN: 0
; COMPUTE_PGM_RSRC2:USER_SGPR: 2
; COMPUTE_PGM_RSRC2:TRAP_HANDLER: 0
; COMPUTE_PGM_RSRC2:TGID_X_EN: 1
; COMPUTE_PGM_RSRC2:TGID_Y_EN: 0
; COMPUTE_PGM_RSRC2:TGID_Z_EN: 1
; COMPUTE_PGM_RSRC2:TIDIG_COMP_CNT: 0
	.section	.text._ZL26rocblas_hscal_mlt_4_kernelILi256EPKDF16_PDF16_EviiiT0_lT1_lli,"axG",@progbits,_ZL26rocblas_hscal_mlt_4_kernelILi256EPKDF16_PDF16_EviiiT0_lT1_lli,comdat
	.globl	_ZL26rocblas_hscal_mlt_4_kernelILi256EPKDF16_PDF16_EviiiT0_lT1_lli ; -- Begin function _ZL26rocblas_hscal_mlt_4_kernelILi256EPKDF16_PDF16_EviiiT0_lT1_lli
	.p2align	8
	.type	_ZL26rocblas_hscal_mlt_4_kernelILi256EPKDF16_PDF16_EviiiT0_lT1_lli,@function
_ZL26rocblas_hscal_mlt_4_kernelILi256EPKDF16_PDF16_EviiiT0_lT1_lli: ; @_ZL26rocblas_hscal_mlt_4_kernelILi256EPKDF16_PDF16_EviiiT0_lT1_lli
; %bb.0:
	s_load_b32 s15, s[0:1], 0x38
	s_bfe_u32 s2, ttmp6, 0x40014
	s_lshr_b32 s4, ttmp7, 16
	s_add_co_i32 s2, s2, 1
	s_bfe_u32 s5, ttmp6, 0x40008
	s_mul_i32 s2, s4, s2
	s_getreg_b32 s3, hwreg(HW_REG_IB_STS2, 6, 4)
	s_add_co_i32 s5, s5, s2
	s_cmp_eq_u32 s3, 0
	s_mov_b32 s17, 0
	s_cselect_b32 s2, s4, s5
	s_wait_kmcnt 0x0
	s_cmp_ge_u32 s2, s15
	s_cbranch_scc1 .LBB2_16
; %bb.1:
	s_clause 0x2
	s_load_b128 s[4:7], s[0:1], 0x28
	s_load_b96 s[12:14], s[0:1], 0x0
	s_load_b64 s[18:19], s[0:1], 0x20
	s_bfe_u32 s8, ttmp6, 0x4000c
	s_and_b32 s9, ttmp6, 15
	s_add_co_i32 s8, s8, 1
	v_dual_mov_b32 v1, 0 :: v_dual_lshlrev_b32 v0, 2, v0
	s_mul_i32 s8, ttmp9, s8
	s_delay_alu instid0(SALU_CYCLE_1)
	s_add_co_i32 s9, s9, s8
	s_wait_kmcnt 0x0
	s_lshl_b64 s[4:5], s[4:5], 1
	s_cmp_eq_u32 s3, 0
	s_add_nc_u64 s[4:5], s[18:19], s[4:5]
	s_cselect_b32 s3, ttmp9, s9
	s_load_b128 s[8:11], s[0:1], 0x10
	v_lshl_or_b32 v0, s3, 10, v0
	s_wait_xcnt 0x0
	v_sub_co_u32 v2, s0, 0, s13
	s_delay_alu instid0(VALU_DEP_2) | instskip(SKIP_1) | instid1(VALU_DEP_3)
	v_cmp_eq_u32_e32 vcc_lo, s14, v0
	v_or_b32_e32 v4, 3, v0
	v_cmp_le_u32_e64 s1, s14, v2
	v_lshl_add_u64 v[2:3], v[0:1], 1, s[4:5]
	s_and_b32 s20, s0, vcc_lo
	s_cmp_gt_i32 s13, 0
	v_cmp_gt_u32_e64 s0, s12, v4
	s_cselect_b32 s12, -1, 0
	s_cmp_gt_u32 s13, 3
	s_cselect_b32 s3, -1, 0
	s_and_b32 s21, s13, 0x7ffffffc
	s_and_b32 s1, s3, s1
	s_cmp_lg_u32 s13, s21
	s_cselect_b32 s22, -1, 0
	s_branch .LBB2_4
.LBB2_2:                                ;   in Loop: Header=BB2_4 Depth=1
	s_wait_xcnt 0x0
	s_or_b32 exec_lo, exec_lo, s23
.LBB2_3:                                ;   in Loop: Header=BB2_4 Depth=1
	s_add_co_i32 s2, s2, 0x10000
	s_delay_alu instid0(SALU_CYCLE_1)
	s_cmp_lt_u32 s2, s15
	s_cbranch_scc0 .LBB2_16
.LBB2_4:                                ; =>This Loop Header: Depth=1
                                        ;     Child Loop BB2_11 Depth 2
                                        ;     Child Loop BB2_15 Depth 2
	s_mov_b32 s3, s17
	s_wait_kmcnt 0x0
	s_wait_xcnt 0x0
	s_mul_u64 s[18:19], s[10:11], s[2:3]
	s_delay_alu instid0(SALU_CYCLE_1) | instskip(NEXT) | instid1(SALU_CYCLE_1)
	s_lshl_b64 s[18:19], s[18:19], 1
	s_add_nc_u64 s[18:19], s[8:9], s[18:19]
	global_load_u16 v0, v1, s[18:19]
	s_wait_loadcnt 0x0
	v_cmp_eq_f16_e32 vcc_lo, 1.0, v0
	s_cbranch_vccnz .LBB2_3
; %bb.5:                                ;   in Loop: Header=BB2_4 Depth=1
	s_wait_xcnt 0x0
	s_and_saveexec_b32 s16, s0
	s_cbranch_execz .LBB2_7
; %bb.6:                                ;   in Loop: Header=BB2_4 Depth=1
	s_mul_u64 s[18:19], s[6:7], s[2:3]
	s_delay_alu instid0(SALU_CYCLE_1)
	v_lshl_add_u64 v[4:5], s[18:19], 1, v[2:3]
	global_load_b64 v[6:7], v[4:5], off
	s_wait_loadcnt 0x0
	v_pk_mul_f16 v7, v0, v7 op_sel_hi:[0,1]
	v_pk_mul_f16 v6, v0, v6 op_sel_hi:[0,1]
	global_store_b64 v[4:5], v[6:7], off
.LBB2_7:                                ;   in Loop: Header=BB2_4 Depth=1
	s_wait_xcnt 0x0
	s_or_b32 exec_lo, exec_lo, s16
	s_and_saveexec_b32 s23, s20
	s_cbranch_execz .LBB2_2
; %bb.8:                                ;   in Loop: Header=BB2_4 Depth=1
	s_and_not1_b32 vcc_lo, exec_lo, s12
	s_cbranch_vccnz .LBB2_2
; %bb.9:                                ;   in Loop: Header=BB2_4 Depth=1
	s_mul_u64 s[18:19], s[6:7], s[2:3]
	s_and_not1_b32 vcc_lo, exec_lo, s1
	s_lshl_b64 s[18:19], s[18:19], 1
	s_delay_alu instid0(SALU_CYCLE_1)
	s_add_nc_u64 s[18:19], s[4:5], s[18:19]
	s_cbranch_vccnz .LBB2_13
; %bb.10:                               ;   in Loop: Header=BB2_4 Depth=1
	v_and_b32_e32 v4, 0xffff, v0
	s_mov_b32 s16, s14
	s_mov_b32 s3, s21
	s_delay_alu instid0(VALU_DEP_1)
	v_lshl_or_b32 v4, v0, 16, v4
.LBB2_11:                               ;   Parent Loop BB2_4 Depth=1
                                        ; =>  This Inner Loop Header: Depth=2
	s_lshl_b64 s[24:25], s[16:17], 1
	s_add_co_i32 s3, s3, -4
	s_wait_xcnt 0x0
	s_add_nc_u64 s[26:27], s[18:19], s[24:25]
	s_add_co_i32 s16, s16, 4
	global_load_b64 v[6:7], v1, s[26:27]
	s_mov_b32 s24, s21
	s_cmp_lg_u32 s3, 0
	s_mov_b32 s25, s22
	s_wait_loadcnt 0x0
	v_pk_mul_f16 v7, v4, v7
	v_pk_mul_f16 v6, v4, v6
	global_store_b64 v1, v[6:7], s[26:27]
	s_cbranch_scc1 .LBB2_11
; %bb.12:                               ;   in Loop: Header=BB2_4 Depth=1
	s_and_b32 vcc_lo, exec_lo, s25
	s_cbranch_vccz .LBB2_2
	s_branch .LBB2_14
.LBB2_13:                               ;   in Loop: Header=BB2_4 Depth=1
	s_mov_b32 s24, 0
	s_cbranch_execz .LBB2_2
.LBB2_14:                               ;   in Loop: Header=BB2_4 Depth=1
	s_sub_co_i32 s3, s13, s24
	s_add_co_i32 s16, s14, s24
.LBB2_15:                               ;   Parent Loop BB2_4 Depth=1
                                        ; =>  This Inner Loop Header: Depth=2
	s_wait_xcnt 0x0
	v_mov_b32_e32 v4, s16
	s_add_co_i32 s3, s3, -1
	s_add_co_i32 s16, s16, 1
	s_cmp_lg_u32 s3, 0
	global_load_u16 v5, v4, s[18:19] scale_offset
	s_wait_loadcnt 0x0
	v_mul_f16_e32 v5, v0, v5
	global_store_b16 v4, v5, s[18:19] scale_offset
	s_cbranch_scc1 .LBB2_15
	s_branch .LBB2_2
.LBB2_16:
	s_endpgm
	.section	.rodata,"a",@progbits
	.p2align	6, 0x0
	.amdhsa_kernel _ZL26rocblas_hscal_mlt_4_kernelILi256EPKDF16_PDF16_EviiiT0_lT1_lli
		.amdhsa_group_segment_fixed_size 0
		.amdhsa_private_segment_fixed_size 0
		.amdhsa_kernarg_size 60
		.amdhsa_user_sgpr_count 2
		.amdhsa_user_sgpr_dispatch_ptr 0
		.amdhsa_user_sgpr_queue_ptr 0
		.amdhsa_user_sgpr_kernarg_segment_ptr 1
		.amdhsa_user_sgpr_dispatch_id 0
		.amdhsa_user_sgpr_kernarg_preload_length 0
		.amdhsa_user_sgpr_kernarg_preload_offset 0
		.amdhsa_user_sgpr_private_segment_size 0
		.amdhsa_wavefront_size32 1
		.amdhsa_uses_dynamic_stack 0
		.amdhsa_enable_private_segment 0
		.amdhsa_system_sgpr_workgroup_id_x 1
		.amdhsa_system_sgpr_workgroup_id_y 0
		.amdhsa_system_sgpr_workgroup_id_z 1
		.amdhsa_system_sgpr_workgroup_info 0
		.amdhsa_system_vgpr_workitem_id 0
		.amdhsa_next_free_vgpr 8
		.amdhsa_next_free_sgpr 28
		.amdhsa_named_barrier_count 0
		.amdhsa_reserve_vcc 1
		.amdhsa_float_round_mode_32 0
		.amdhsa_float_round_mode_16_64 0
		.amdhsa_float_denorm_mode_32 3
		.amdhsa_float_denorm_mode_16_64 3
		.amdhsa_fp16_overflow 0
		.amdhsa_memory_ordered 1
		.amdhsa_forward_progress 1
		.amdhsa_inst_pref_size 6
		.amdhsa_round_robin_scheduling 0
		.amdhsa_exception_fp_ieee_invalid_op 0
		.amdhsa_exception_fp_denorm_src 0
		.amdhsa_exception_fp_ieee_div_zero 0
		.amdhsa_exception_fp_ieee_overflow 0
		.amdhsa_exception_fp_ieee_underflow 0
		.amdhsa_exception_fp_ieee_inexact 0
		.amdhsa_exception_int_div_zero 0
	.end_amdhsa_kernel
	.section	.text._ZL26rocblas_hscal_mlt_4_kernelILi256EPKDF16_PDF16_EviiiT0_lT1_lli,"axG",@progbits,_ZL26rocblas_hscal_mlt_4_kernelILi256EPKDF16_PDF16_EviiiT0_lT1_lli,comdat
.Lfunc_end2:
	.size	_ZL26rocblas_hscal_mlt_4_kernelILi256EPKDF16_PDF16_EviiiT0_lT1_lli, .Lfunc_end2-_ZL26rocblas_hscal_mlt_4_kernelILi256EPKDF16_PDF16_EviiiT0_lT1_lli
                                        ; -- End function
	.set _ZL26rocblas_hscal_mlt_4_kernelILi256EPKDF16_PDF16_EviiiT0_lT1_lli.num_vgpr, 8
	.set _ZL26rocblas_hscal_mlt_4_kernelILi256EPKDF16_PDF16_EviiiT0_lT1_lli.num_agpr, 0
	.set _ZL26rocblas_hscal_mlt_4_kernelILi256EPKDF16_PDF16_EviiiT0_lT1_lli.numbered_sgpr, 28
	.set _ZL26rocblas_hscal_mlt_4_kernelILi256EPKDF16_PDF16_EviiiT0_lT1_lli.num_named_barrier, 0
	.set _ZL26rocblas_hscal_mlt_4_kernelILi256EPKDF16_PDF16_EviiiT0_lT1_lli.private_seg_size, 0
	.set _ZL26rocblas_hscal_mlt_4_kernelILi256EPKDF16_PDF16_EviiiT0_lT1_lli.uses_vcc, 1
	.set _ZL26rocblas_hscal_mlt_4_kernelILi256EPKDF16_PDF16_EviiiT0_lT1_lli.uses_flat_scratch, 0
	.set _ZL26rocblas_hscal_mlt_4_kernelILi256EPKDF16_PDF16_EviiiT0_lT1_lli.has_dyn_sized_stack, 0
	.set _ZL26rocblas_hscal_mlt_4_kernelILi256EPKDF16_PDF16_EviiiT0_lT1_lli.has_recursion, 0
	.set _ZL26rocblas_hscal_mlt_4_kernelILi256EPKDF16_PDF16_EviiiT0_lT1_lli.has_indirect_call, 0
	.section	.AMDGPU.csdata,"",@progbits
; Kernel info:
; codeLenInByte = 660
; TotalNumSgprs: 30
; NumVgprs: 8
; ScratchSize: 0
; MemoryBound: 0
; FloatMode: 240
; IeeeMode: 1
; LDSByteSize: 0 bytes/workgroup (compile time only)
; SGPRBlocks: 0
; VGPRBlocks: 0
; NumSGPRsForWavesPerEU: 30
; NumVGPRsForWavesPerEU: 8
; NamedBarCnt: 0
; Occupancy: 16
; WaveLimiterHint : 0
; COMPUTE_PGM_RSRC2:SCRATCH_EN: 0
; COMPUTE_PGM_RSRC2:USER_SGPR: 2
; COMPUTE_PGM_RSRC2:TRAP_HANDLER: 0
; COMPUTE_PGM_RSRC2:TGID_X_EN: 1
; COMPUTE_PGM_RSRC2:TGID_Y_EN: 0
; COMPUTE_PGM_RSRC2:TGID_Z_EN: 1
; COMPUTE_PGM_RSRC2:TIDIG_COMP_CNT: 0
	.section	.text._ZL26rocblas_hscal_mlt_4_kernelILi256EDF16_PDF16_EviiiT0_lT1_lli,"axG",@progbits,_ZL26rocblas_hscal_mlt_4_kernelILi256EDF16_PDF16_EviiiT0_lT1_lli,comdat
	.globl	_ZL26rocblas_hscal_mlt_4_kernelILi256EDF16_PDF16_EviiiT0_lT1_lli ; -- Begin function _ZL26rocblas_hscal_mlt_4_kernelILi256EDF16_PDF16_EviiiT0_lT1_lli
	.p2align	8
	.type	_ZL26rocblas_hscal_mlt_4_kernelILi256EDF16_PDF16_EviiiT0_lT1_lli,@function
_ZL26rocblas_hscal_mlt_4_kernelILi256EDF16_PDF16_EviiiT0_lT1_lli: ; @_ZL26rocblas_hscal_mlt_4_kernelILi256EDF16_PDF16_EviiiT0_lT1_lli
; %bb.0:
	s_load_b32 s16, s[0:1], 0x30
	s_bfe_u32 s2, ttmp6, 0x40014
	s_lshr_b32 s4, ttmp7, 16
	s_add_co_i32 s2, s2, 1
	s_bfe_u32 s5, ttmp6, 0x40008
	s_mul_i32 s2, s4, s2
	s_getreg_b32 s3, hwreg(HW_REG_IB_STS2, 6, 4)
	s_add_co_i32 s5, s5, s2
	s_cmp_eq_u32 s3, 0
	s_mov_b32 s13, 0
	s_cselect_b32 s2, s4, s5
	s_wait_kmcnt 0x0
	s_cmp_ge_u32 s2, s16
	s_cbranch_scc1 .LBB3_15
; %bb.1:
	s_clause 0x2
	s_load_b128 s[4:7], s[0:1], 0x20
	s_load_b128 s[8:11], s[0:1], 0x0
	s_load_b64 s[14:15], s[0:1], 0x18
	s_wait_xcnt 0x0
	s_bfe_u32 s0, ttmp6, 0x4000c
	s_and_b32 s1, ttmp6, 15
	s_add_co_i32 s0, s0, 1
	v_dual_mov_b32 v1, 0 :: v_dual_lshlrev_b32 v0, 2, v0
	s_mul_i32 s0, ttmp9, s0
	s_delay_alu instid0(SALU_CYCLE_1)
	s_add_co_i32 s1, s1, s0
	s_wait_kmcnt 0x0
	s_lshl_b64 s[4:5], s[4:5], 1
	s_cmp_eq_u32 s3, 0
	v_sub_co_u32 v2, s3, 0, s9
	s_cselect_b32 s0, ttmp9, s1
	s_cmp_neq_f16 s11, 0x3c00
	v_lshl_or_b32 v0, s0, 10, v0
	v_cmp_le_u32_e32 vcc_lo, s10, v2
	s_add_nc_u64 s[4:5], s[14:15], s[4:5]
	s_cselect_b32 s17, -1, 0
	s_pack_ll_b32_b16 s1, s11, s11
	v_cmp_eq_u32_e64 s0, s10, v0
	v_or_b32_e32 v4, 3, v0
	v_lshl_add_u64 v[2:3], v[0:1], 1, s[4:5]
	s_mov_b32 s21, s1
	s_and_b32 s18, s3, s0
	s_cmp_gt_i32 s9, 0
	v_cmp_gt_u32_e64 s0, s8, v4
	s_cselect_b32 s8, -1, 0
	s_cmp_gt_u32 s9, 3
	s_cselect_b32 s3, -1, 0
	s_and_b32 s19, s9, 0x7ffffffc
	s_and_b32 s20, s3, vcc_lo
	s_cmp_lg_u32 s9, s19
	s_cselect_b32 s22, -1, 0
	s_branch .LBB3_4
.LBB3_2:                                ;   in Loop: Header=BB3_4 Depth=1
	s_wait_xcnt 0x0
	s_or_b32 exec_lo, exec_lo, s23
.LBB3_3:                                ;   in Loop: Header=BB3_4 Depth=1
	s_add_co_i32 s2, s2, 0x10000
	s_delay_alu instid0(SALU_CYCLE_1)
	s_cmp_lt_u32 s2, s16
	s_cbranch_scc0 .LBB3_15
.LBB3_4:                                ; =>This Loop Header: Depth=1
                                        ;     Child Loop BB3_10 Depth 2
                                        ;     Child Loop BB3_14 Depth 2
	s_and_not1_b32 vcc_lo, exec_lo, s17
	s_cbranch_vccnz .LBB3_3
; %bb.5:                                ;   in Loop: Header=BB3_4 Depth=1
	s_and_saveexec_b32 s12, s0
	s_cbranch_execz .LBB3_7
; %bb.6:                                ;   in Loop: Header=BB3_4 Depth=1
	s_mov_b32 s3, s13
	s_delay_alu instid0(SALU_CYCLE_1) | instskip(NEXT) | instid1(SALU_CYCLE_1)
	s_mul_u64 s[14:15], s[6:7], s[2:3]
	v_lshl_add_u64 v[4:5], s[14:15], 1, v[2:3]
	global_load_b64 v[6:7], v[4:5], off
	s_wait_loadcnt 0x0
	v_pk_mul_f16 v7, s21, v7
	v_pk_mul_f16 v6, s1, v6
	global_store_b64 v[4:5], v[6:7], off
.LBB3_7:                                ;   in Loop: Header=BB3_4 Depth=1
	s_wait_xcnt 0x0
	s_or_b32 exec_lo, exec_lo, s12
	s_and_saveexec_b32 s23, s18
	s_cbranch_execz .LBB3_2
; %bb.8:                                ;   in Loop: Header=BB3_4 Depth=1
	s_and_not1_b32 vcc_lo, exec_lo, s8
	s_cbranch_vccnz .LBB3_2
; %bb.9:                                ;   in Loop: Header=BB3_4 Depth=1
	s_mov_b32 s3, s13
	s_mov_b32 s12, s10
	s_mul_u64 s[14:15], s[6:7], s[2:3]
	s_and_not1_b32 vcc_lo, exec_lo, s20
	s_lshl_b64 s[14:15], s[14:15], 1
	s_mov_b32 s3, s19
	s_add_nc_u64 s[14:15], s[4:5], s[14:15]
	s_cbranch_vccnz .LBB3_12
.LBB3_10:                               ;   Parent Loop BB3_4 Depth=1
                                        ; =>  This Inner Loop Header: Depth=2
	s_lshl_b64 s[24:25], s[12:13], 1
	s_add_co_i32 s3, s3, -4
	s_wait_xcnt 0x0
	s_add_nc_u64 s[26:27], s[14:15], s[24:25]
	s_add_co_i32 s12, s12, 4
	global_load_b64 v[4:5], v1, s[26:27]
	s_mov_b32 s24, s19
	s_cmp_lg_u32 s3, 0
	s_mov_b32 s25, s22
	s_wait_loadcnt 0x0
	v_pk_mul_f16 v5, s21, v5
	v_pk_mul_f16 v4, s1, v4
	global_store_b64 v1, v[4:5], s[26:27]
	s_cbranch_scc1 .LBB3_10
; %bb.11:                               ;   in Loop: Header=BB3_4 Depth=1
	s_and_b32 vcc_lo, exec_lo, s25
	s_cbranch_vccz .LBB3_2
	s_branch .LBB3_13
.LBB3_12:                               ;   in Loop: Header=BB3_4 Depth=1
	s_mov_b32 s24, 0
	s_cbranch_execz .LBB3_2
.LBB3_13:                               ;   in Loop: Header=BB3_4 Depth=1
	s_sub_co_i32 s3, s9, s24
	s_add_co_i32 s12, s10, s24
.LBB3_14:                               ;   Parent Loop BB3_4 Depth=1
                                        ; =>  This Inner Loop Header: Depth=2
	s_wait_xcnt 0x0
	v_mov_b32_e32 v0, s12
	s_add_co_i32 s3, s3, -1
	s_add_co_i32 s12, s12, 1
	s_cmp_lg_u32 s3, 0
	global_load_u16 v4, v0, s[14:15] scale_offset
	s_wait_loadcnt 0x0
	v_mul_f16_e32 v4, s11, v4
	global_store_b16 v0, v4, s[14:15] scale_offset
	s_cbranch_scc1 .LBB3_14
	s_branch .LBB3_2
.LBB3_15:
	s_endpgm
	.section	.rodata,"a",@progbits
	.p2align	6, 0x0
	.amdhsa_kernel _ZL26rocblas_hscal_mlt_4_kernelILi256EDF16_PDF16_EviiiT0_lT1_lli
		.amdhsa_group_segment_fixed_size 0
		.amdhsa_private_segment_fixed_size 0
		.amdhsa_kernarg_size 52
		.amdhsa_user_sgpr_count 2
		.amdhsa_user_sgpr_dispatch_ptr 0
		.amdhsa_user_sgpr_queue_ptr 0
		.amdhsa_user_sgpr_kernarg_segment_ptr 1
		.amdhsa_user_sgpr_dispatch_id 0
		.amdhsa_user_sgpr_kernarg_preload_length 0
		.amdhsa_user_sgpr_kernarg_preload_offset 0
		.amdhsa_user_sgpr_private_segment_size 0
		.amdhsa_wavefront_size32 1
		.amdhsa_uses_dynamic_stack 0
		.amdhsa_enable_private_segment 0
		.amdhsa_system_sgpr_workgroup_id_x 1
		.amdhsa_system_sgpr_workgroup_id_y 0
		.amdhsa_system_sgpr_workgroup_id_z 1
		.amdhsa_system_sgpr_workgroup_info 0
		.amdhsa_system_vgpr_workitem_id 0
		.amdhsa_next_free_vgpr 8
		.amdhsa_next_free_sgpr 28
		.amdhsa_named_barrier_count 0
		.amdhsa_reserve_vcc 1
		.amdhsa_float_round_mode_32 0
		.amdhsa_float_round_mode_16_64 0
		.amdhsa_float_denorm_mode_32 3
		.amdhsa_float_denorm_mode_16_64 3
		.amdhsa_fp16_overflow 0
		.amdhsa_memory_ordered 1
		.amdhsa_forward_progress 1
		.amdhsa_inst_pref_size 5
		.amdhsa_round_robin_scheduling 0
		.amdhsa_exception_fp_ieee_invalid_op 0
		.amdhsa_exception_fp_denorm_src 0
		.amdhsa_exception_fp_ieee_div_zero 0
		.amdhsa_exception_fp_ieee_overflow 0
		.amdhsa_exception_fp_ieee_underflow 0
		.amdhsa_exception_fp_ieee_inexact 0
		.amdhsa_exception_int_div_zero 0
	.end_amdhsa_kernel
	.section	.text._ZL26rocblas_hscal_mlt_4_kernelILi256EDF16_PDF16_EviiiT0_lT1_lli,"axG",@progbits,_ZL26rocblas_hscal_mlt_4_kernelILi256EDF16_PDF16_EviiiT0_lT1_lli,comdat
.Lfunc_end3:
	.size	_ZL26rocblas_hscal_mlt_4_kernelILi256EDF16_PDF16_EviiiT0_lT1_lli, .Lfunc_end3-_ZL26rocblas_hscal_mlt_4_kernelILi256EDF16_PDF16_EviiiT0_lT1_lli
                                        ; -- End function
	.set _ZL26rocblas_hscal_mlt_4_kernelILi256EDF16_PDF16_EviiiT0_lT1_lli.num_vgpr, 8
	.set _ZL26rocblas_hscal_mlt_4_kernelILi256EDF16_PDF16_EviiiT0_lT1_lli.num_agpr, 0
	.set _ZL26rocblas_hscal_mlt_4_kernelILi256EDF16_PDF16_EviiiT0_lT1_lli.numbered_sgpr, 28
	.set _ZL26rocblas_hscal_mlt_4_kernelILi256EDF16_PDF16_EviiiT0_lT1_lli.num_named_barrier, 0
	.set _ZL26rocblas_hscal_mlt_4_kernelILi256EDF16_PDF16_EviiiT0_lT1_lli.private_seg_size, 0
	.set _ZL26rocblas_hscal_mlt_4_kernelILi256EDF16_PDF16_EviiiT0_lT1_lli.uses_vcc, 1
	.set _ZL26rocblas_hscal_mlt_4_kernelILi256EDF16_PDF16_EviiiT0_lT1_lli.uses_flat_scratch, 0
	.set _ZL26rocblas_hscal_mlt_4_kernelILi256EDF16_PDF16_EviiiT0_lT1_lli.has_dyn_sized_stack, 0
	.set _ZL26rocblas_hscal_mlt_4_kernelILi256EDF16_PDF16_EviiiT0_lT1_lli.has_recursion, 0
	.set _ZL26rocblas_hscal_mlt_4_kernelILi256EDF16_PDF16_EviiiT0_lT1_lli.has_indirect_call, 0
	.section	.AMDGPU.csdata,"",@progbits
; Kernel info:
; codeLenInByte = 604
; TotalNumSgprs: 30
; NumVgprs: 8
; ScratchSize: 0
; MemoryBound: 0
; FloatMode: 240
; IeeeMode: 1
; LDSByteSize: 0 bytes/workgroup (compile time only)
; SGPRBlocks: 0
; VGPRBlocks: 0
; NumSGPRsForWavesPerEU: 30
; NumVGPRsForWavesPerEU: 8
; NamedBarCnt: 0
; Occupancy: 16
; WaveLimiterHint : 0
; COMPUTE_PGM_RSRC2:SCRATCH_EN: 0
; COMPUTE_PGM_RSRC2:USER_SGPR: 2
; COMPUTE_PGM_RSRC2:TRAP_HANDLER: 0
; COMPUTE_PGM_RSRC2:TGID_X_EN: 1
; COMPUTE_PGM_RSRC2:TGID_Y_EN: 0
; COMPUTE_PGM_RSRC2:TGID_Z_EN: 1
; COMPUTE_PGM_RSRC2:TIDIG_COMP_CNT: 0
	.section	.text._ZL19rocblas_scal_kernelIiLi256EDF16_DF16_PKDF16_PDF16_EviT3_lT4_lT_li,"axG",@progbits,_ZL19rocblas_scal_kernelIiLi256EDF16_DF16_PKDF16_PDF16_EviT3_lT4_lT_li,comdat
	.globl	_ZL19rocblas_scal_kernelIiLi256EDF16_DF16_PKDF16_PDF16_EviT3_lT4_lT_li ; -- Begin function _ZL19rocblas_scal_kernelIiLi256EDF16_DF16_PKDF16_PDF16_EviT3_lT4_lT_li
	.p2align	8
	.type	_ZL19rocblas_scal_kernelIiLi256EDF16_DF16_PKDF16_PDF16_EviT3_lT4_lT_li,@function
_ZL19rocblas_scal_kernelIiLi256EDF16_DF16_PKDF16_PDF16_EviT3_lT4_lT_li: ; @_ZL19rocblas_scal_kernelIiLi256EDF16_DF16_PKDF16_PDF16_EviT3_lT4_lT_li
; %bb.0:
	s_load_b32 s14, s[0:1], 0x38
	s_bfe_u32 s2, ttmp6, 0x40014
	s_lshr_b32 s3, ttmp7, 16
	s_add_co_i32 s2, s2, 1
	s_bfe_u32 s4, ttmp6, 0x40008
	s_mul_i32 s2, s3, s2
	s_getreg_b32 s15, hwreg(HW_REG_IB_STS2, 6, 4)
	s_add_co_i32 s4, s4, s2
	s_cmp_eq_u32 s15, 0
	s_cselect_b32 s2, s3, s4
	s_mov_b32 s3, 0
	s_wait_kmcnt 0x0
	s_cmp_ge_u32 s2, s14
	s_cbranch_scc1 .LBB4_5
; %bb.1:
	s_clause 0x1
	s_load_b32 s16, s[0:1], 0x28
	s_load_b256 s[4:11], s[0:1], 0x8
	s_bfe_u32 s12, ttmp6, 0x4000c
	s_and_b32 s17, ttmp6, 15
	s_add_co_i32 s12, s12, 1
	v_mov_b32_e32 v1, 0
	s_mul_i32 s18, ttmp9, s12
	s_load_b64 s[12:13], s[0:1], 0x30
	s_add_co_i32 s18, s17, s18
	s_wait_kmcnt 0x0
	s_ashr_i32 s17, s16, 31
	s_lshl_b64 s[10:11], s[10:11], 1
	s_cmp_eq_u32 s15, 0
	s_cselect_b32 s15, ttmp9, s18
	s_delay_alu instid0(SALU_CYCLE_1) | instskip(SKIP_3) | instid1(VALU_DEP_1)
	v_lshl_or_b32 v0, s15, 8, v0
	s_load_b32 s15, s[0:1], 0x0
	s_wait_xcnt 0x0
	s_add_nc_u64 s[0:1], s[8:9], s[10:11]
	v_mul_u64_e32 v[2:3], s[16:17], v[0:1]
	s_wait_kmcnt 0x0
	v_cmp_gt_u32_e32 vcc_lo, s15, v0
	s_delay_alu instid0(VALU_DEP_2)
	v_lshl_add_u64 v[2:3], v[2:3], 1, s[0:1]
	s_branch .LBB4_3
.LBB4_2:                                ;   in Loop: Header=BB4_3 Depth=1
	s_wait_xcnt 0x0
	s_or_b32 exec_lo, exec_lo, s0
	s_add_co_i32 s2, s2, 0x10000
	s_delay_alu instid0(SALU_CYCLE_1)
	s_cmp_lt_u32 s2, s14
	s_cbranch_scc0 .LBB4_5
.LBB4_3:                                ; =>This Inner Loop Header: Depth=1
	s_mul_u64 s[0:1], s[6:7], s[2:3]
	s_delay_alu instid0(SALU_CYCLE_1) | instskip(NEXT) | instid1(SALU_CYCLE_1)
	s_lshl_b64 s[0:1], s[0:1], 1
	s_add_nc_u64 s[0:1], s[4:5], s[0:1]
	global_load_u16 v0, v1, s[0:1]
	s_wait_loadcnt 0x0
	s_wait_xcnt 0x0
	v_readfirstlane_b32 s0, v0
	s_cmp_neq_f16 s0, 0x3c00
	s_cselect_b32 s0, -1, 0
	s_delay_alu instid0(SALU_CYCLE_1) | instskip(NEXT) | instid1(SALU_CYCLE_1)
	s_and_b32 s1, vcc_lo, s0
	s_and_saveexec_b32 s0, s1
	s_cbranch_execz .LBB4_2
; %bb.4:                                ;   in Loop: Header=BB4_3 Depth=1
	s_mul_u64 s[8:9], s[12:13], s[2:3]
	s_delay_alu instid0(SALU_CYCLE_1)
	v_lshl_add_u64 v[4:5], s[8:9], 1, v[2:3]
	global_load_u16 v6, v[4:5], off
	s_wait_loadcnt 0x0
	v_mul_f16_e32 v0, v0, v6
	global_store_b16 v[4:5], v0, off
	s_branch .LBB4_2
.LBB4_5:
	s_endpgm
	.section	.rodata,"a",@progbits
	.p2align	6, 0x0
	.amdhsa_kernel _ZL19rocblas_scal_kernelIiLi256EDF16_DF16_PKDF16_PDF16_EviT3_lT4_lT_li
		.amdhsa_group_segment_fixed_size 0
		.amdhsa_private_segment_fixed_size 0
		.amdhsa_kernarg_size 60
		.amdhsa_user_sgpr_count 2
		.amdhsa_user_sgpr_dispatch_ptr 0
		.amdhsa_user_sgpr_queue_ptr 0
		.amdhsa_user_sgpr_kernarg_segment_ptr 1
		.amdhsa_user_sgpr_dispatch_id 0
		.amdhsa_user_sgpr_kernarg_preload_length 0
		.amdhsa_user_sgpr_kernarg_preload_offset 0
		.amdhsa_user_sgpr_private_segment_size 0
		.amdhsa_wavefront_size32 1
		.amdhsa_uses_dynamic_stack 0
		.amdhsa_enable_private_segment 0
		.amdhsa_system_sgpr_workgroup_id_x 1
		.amdhsa_system_sgpr_workgroup_id_y 0
		.amdhsa_system_sgpr_workgroup_id_z 1
		.amdhsa_system_sgpr_workgroup_info 0
		.amdhsa_system_vgpr_workitem_id 0
		.amdhsa_next_free_vgpr 7
		.amdhsa_next_free_sgpr 19
		.amdhsa_named_barrier_count 0
		.amdhsa_reserve_vcc 1
		.amdhsa_float_round_mode_32 0
		.amdhsa_float_round_mode_16_64 0
		.amdhsa_float_denorm_mode_32 3
		.amdhsa_float_denorm_mode_16_64 3
		.amdhsa_fp16_overflow 0
		.amdhsa_memory_ordered 1
		.amdhsa_forward_progress 1
		.amdhsa_inst_pref_size 3
		.amdhsa_round_robin_scheduling 0
		.amdhsa_exception_fp_ieee_invalid_op 0
		.amdhsa_exception_fp_denorm_src 0
		.amdhsa_exception_fp_ieee_div_zero 0
		.amdhsa_exception_fp_ieee_overflow 0
		.amdhsa_exception_fp_ieee_underflow 0
		.amdhsa_exception_fp_ieee_inexact 0
		.amdhsa_exception_int_div_zero 0
	.end_amdhsa_kernel
	.section	.text._ZL19rocblas_scal_kernelIiLi256EDF16_DF16_PKDF16_PDF16_EviT3_lT4_lT_li,"axG",@progbits,_ZL19rocblas_scal_kernelIiLi256EDF16_DF16_PKDF16_PDF16_EviT3_lT4_lT_li,comdat
.Lfunc_end4:
	.size	_ZL19rocblas_scal_kernelIiLi256EDF16_DF16_PKDF16_PDF16_EviT3_lT4_lT_li, .Lfunc_end4-_ZL19rocblas_scal_kernelIiLi256EDF16_DF16_PKDF16_PDF16_EviT3_lT4_lT_li
                                        ; -- End function
	.set _ZL19rocblas_scal_kernelIiLi256EDF16_DF16_PKDF16_PDF16_EviT3_lT4_lT_li.num_vgpr, 7
	.set _ZL19rocblas_scal_kernelIiLi256EDF16_DF16_PKDF16_PDF16_EviT3_lT4_lT_li.num_agpr, 0
	.set _ZL19rocblas_scal_kernelIiLi256EDF16_DF16_PKDF16_PDF16_EviT3_lT4_lT_li.numbered_sgpr, 19
	.set _ZL19rocblas_scal_kernelIiLi256EDF16_DF16_PKDF16_PDF16_EviT3_lT4_lT_li.num_named_barrier, 0
	.set _ZL19rocblas_scal_kernelIiLi256EDF16_DF16_PKDF16_PDF16_EviT3_lT4_lT_li.private_seg_size, 0
	.set _ZL19rocblas_scal_kernelIiLi256EDF16_DF16_PKDF16_PDF16_EviT3_lT4_lT_li.uses_vcc, 1
	.set _ZL19rocblas_scal_kernelIiLi256EDF16_DF16_PKDF16_PDF16_EviT3_lT4_lT_li.uses_flat_scratch, 0
	.set _ZL19rocblas_scal_kernelIiLi256EDF16_DF16_PKDF16_PDF16_EviT3_lT4_lT_li.has_dyn_sized_stack, 0
	.set _ZL19rocblas_scal_kernelIiLi256EDF16_DF16_PKDF16_PDF16_EviT3_lT4_lT_li.has_recursion, 0
	.set _ZL19rocblas_scal_kernelIiLi256EDF16_DF16_PKDF16_PDF16_EviT3_lT4_lT_li.has_indirect_call, 0
	.section	.AMDGPU.csdata,"",@progbits
; Kernel info:
; codeLenInByte = 352
; TotalNumSgprs: 21
; NumVgprs: 7
; ScratchSize: 0
; MemoryBound: 0
; FloatMode: 240
; IeeeMode: 1
; LDSByteSize: 0 bytes/workgroup (compile time only)
; SGPRBlocks: 0
; VGPRBlocks: 0
; NumSGPRsForWavesPerEU: 21
; NumVGPRsForWavesPerEU: 7
; NamedBarCnt: 0
; Occupancy: 16
; WaveLimiterHint : 0
; COMPUTE_PGM_RSRC2:SCRATCH_EN: 0
; COMPUTE_PGM_RSRC2:USER_SGPR: 2
; COMPUTE_PGM_RSRC2:TRAP_HANDLER: 0
; COMPUTE_PGM_RSRC2:TGID_X_EN: 1
; COMPUTE_PGM_RSRC2:TGID_Y_EN: 0
; COMPUTE_PGM_RSRC2:TGID_Z_EN: 1
; COMPUTE_PGM_RSRC2:TIDIG_COMP_CNT: 0
	.section	.text._ZL19rocblas_scal_kernelIiLi256EDF16_DF16_DF16_PDF16_EviT3_lT4_lT_li,"axG",@progbits,_ZL19rocblas_scal_kernelIiLi256EDF16_DF16_DF16_PDF16_EviT3_lT4_lT_li,comdat
	.globl	_ZL19rocblas_scal_kernelIiLi256EDF16_DF16_DF16_PDF16_EviT3_lT4_lT_li ; -- Begin function _ZL19rocblas_scal_kernelIiLi256EDF16_DF16_DF16_PDF16_EviT3_lT4_lT_li
	.p2align	8
	.type	_ZL19rocblas_scal_kernelIiLi256EDF16_DF16_DF16_PDF16_EviT3_lT4_lT_li,@function
_ZL19rocblas_scal_kernelIiLi256EDF16_DF16_DF16_PDF16_EviT3_lT4_lT_li: ; @_ZL19rocblas_scal_kernelIiLi256EDF16_DF16_DF16_PDF16_EviT3_lT4_lT_li
; %bb.0:
	s_load_b32 s6, s[0:1], 0x30
	s_bfe_u32 s2, ttmp6, 0x40014
	s_lshr_b32 s3, ttmp7, 16
	s_add_co_i32 s2, s2, 1
	s_bfe_u32 s4, ttmp6, 0x40008
	s_mul_i32 s2, s3, s2
	s_getreg_b32 s7, hwreg(HW_REG_IB_STS2, 6, 4)
	s_add_co_i32 s4, s4, s2
	s_cmp_eq_u32 s7, 0
	s_cselect_b32 s2, s3, s4
	s_mov_b32 s3, 0
	s_wait_kmcnt 0x0
	s_cmp_ge_u32 s2, s6
	s_cbranch_scc1 .LBB5_5
; %bb.1:
	s_clause 0x1
	s_load_b32 s12, s[0:1], 0x20
	s_load_b128 s[8:11], s[0:1], 0x10
	s_bfe_u32 s4, ttmp6, 0x4000c
	s_and_b32 s13, ttmp6, 15
	s_add_co_i32 s4, s4, 1
	v_mov_b32_e32 v1, 0
	s_mul_i32 s14, ttmp9, s4
	s_load_b64 s[4:5], s[0:1], 0x28
	s_add_co_i32 s14, s13, s14
	s_wait_xcnt 0x0
	s_load_b64 s[0:1], s[0:1], 0x0
	s_wait_kmcnt 0x0
	s_ashr_i32 s13, s12, 31
	s_lshl_b64 s[10:11], s[10:11], 1
	s_cmp_eq_u32 s7, 0
	s_add_nc_u64 s[8:9], s[8:9], s[10:11]
	s_cselect_b32 s7, ttmp9, s14
	s_delay_alu instid0(SALU_CYCLE_1) | instskip(SKIP_1) | instid1(VALU_DEP_1)
	v_lshl_or_b32 v0, s7, 8, v0
	s_cmp_neq_f16 s1, 0x3c00
	v_mul_u64_e32 v[2:3], s[12:13], v[0:1]
	v_cmp_gt_u32_e32 vcc_lo, s0, v0
	s_cselect_b32 s0, -1, 0
	s_delay_alu instid0(SALU_CYCLE_1) | instskip(NEXT) | instid1(VALU_DEP_2)
	s_and_b32 s0, vcc_lo, s0
	v_lshl_add_u64 v[0:1], v[2:3], 1, s[8:9]
	s_branch .LBB5_3
.LBB5_2:                                ;   in Loop: Header=BB5_3 Depth=1
	s_wait_xcnt 0x0
	s_or_b32 exec_lo, exec_lo, s7
	s_add_co_i32 s2, s2, 0x10000
	s_delay_alu instid0(SALU_CYCLE_1)
	s_cmp_lt_u32 s2, s6
	s_cbranch_scc0 .LBB5_5
.LBB5_3:                                ; =>This Inner Loop Header: Depth=1
	s_and_saveexec_b32 s7, s0
	s_cbranch_execz .LBB5_2
; %bb.4:                                ;   in Loop: Header=BB5_3 Depth=1
	s_mul_u64 s[8:9], s[4:5], s[2:3]
	s_delay_alu instid0(SALU_CYCLE_1)
	v_lshl_add_u64 v[2:3], s[8:9], 1, v[0:1]
	global_load_u16 v4, v[2:3], off
	s_wait_loadcnt 0x0
	v_mul_f16_e32 v4, s1, v4
	global_store_b16 v[2:3], v4, off
	s_branch .LBB5_2
.LBB5_5:
	s_endpgm
	.section	.rodata,"a",@progbits
	.p2align	6, 0x0
	.amdhsa_kernel _ZL19rocblas_scal_kernelIiLi256EDF16_DF16_DF16_PDF16_EviT3_lT4_lT_li
		.amdhsa_group_segment_fixed_size 0
		.amdhsa_private_segment_fixed_size 0
		.amdhsa_kernarg_size 52
		.amdhsa_user_sgpr_count 2
		.amdhsa_user_sgpr_dispatch_ptr 0
		.amdhsa_user_sgpr_queue_ptr 0
		.amdhsa_user_sgpr_kernarg_segment_ptr 1
		.amdhsa_user_sgpr_dispatch_id 0
		.amdhsa_user_sgpr_kernarg_preload_length 0
		.amdhsa_user_sgpr_kernarg_preload_offset 0
		.amdhsa_user_sgpr_private_segment_size 0
		.amdhsa_wavefront_size32 1
		.amdhsa_uses_dynamic_stack 0
		.amdhsa_enable_private_segment 0
		.amdhsa_system_sgpr_workgroup_id_x 1
		.amdhsa_system_sgpr_workgroup_id_y 0
		.amdhsa_system_sgpr_workgroup_id_z 1
		.amdhsa_system_sgpr_workgroup_info 0
		.amdhsa_system_vgpr_workitem_id 0
		.amdhsa_next_free_vgpr 5
		.amdhsa_next_free_sgpr 15
		.amdhsa_named_barrier_count 0
		.amdhsa_reserve_vcc 1
		.amdhsa_float_round_mode_32 0
		.amdhsa_float_round_mode_16_64 0
		.amdhsa_float_denorm_mode_32 3
		.amdhsa_float_denorm_mode_16_64 3
		.amdhsa_fp16_overflow 0
		.amdhsa_memory_ordered 1
		.amdhsa_forward_progress 1
		.amdhsa_inst_pref_size 3
		.amdhsa_round_robin_scheduling 0
		.amdhsa_exception_fp_ieee_invalid_op 0
		.amdhsa_exception_fp_denorm_src 0
		.amdhsa_exception_fp_ieee_div_zero 0
		.amdhsa_exception_fp_ieee_overflow 0
		.amdhsa_exception_fp_ieee_underflow 0
		.amdhsa_exception_fp_ieee_inexact 0
		.amdhsa_exception_int_div_zero 0
	.end_amdhsa_kernel
	.section	.text._ZL19rocblas_scal_kernelIiLi256EDF16_DF16_DF16_PDF16_EviT3_lT4_lT_li,"axG",@progbits,_ZL19rocblas_scal_kernelIiLi256EDF16_DF16_DF16_PDF16_EviT3_lT4_lT_li,comdat
.Lfunc_end5:
	.size	_ZL19rocblas_scal_kernelIiLi256EDF16_DF16_DF16_PDF16_EviT3_lT4_lT_li, .Lfunc_end5-_ZL19rocblas_scal_kernelIiLi256EDF16_DF16_DF16_PDF16_EviT3_lT4_lT_li
                                        ; -- End function
	.set _ZL19rocblas_scal_kernelIiLi256EDF16_DF16_DF16_PDF16_EviT3_lT4_lT_li.num_vgpr, 5
	.set _ZL19rocblas_scal_kernelIiLi256EDF16_DF16_DF16_PDF16_EviT3_lT4_lT_li.num_agpr, 0
	.set _ZL19rocblas_scal_kernelIiLi256EDF16_DF16_DF16_PDF16_EviT3_lT4_lT_li.numbered_sgpr, 15
	.set _ZL19rocblas_scal_kernelIiLi256EDF16_DF16_DF16_PDF16_EviT3_lT4_lT_li.num_named_barrier, 0
	.set _ZL19rocblas_scal_kernelIiLi256EDF16_DF16_DF16_PDF16_EviT3_lT4_lT_li.private_seg_size, 0
	.set _ZL19rocblas_scal_kernelIiLi256EDF16_DF16_DF16_PDF16_EviT3_lT4_lT_li.uses_vcc, 1
	.set _ZL19rocblas_scal_kernelIiLi256EDF16_DF16_DF16_PDF16_EviT3_lT4_lT_li.uses_flat_scratch, 0
	.set _ZL19rocblas_scal_kernelIiLi256EDF16_DF16_DF16_PDF16_EviT3_lT4_lT_li.has_dyn_sized_stack, 0
	.set _ZL19rocblas_scal_kernelIiLi256EDF16_DF16_DF16_PDF16_EviT3_lT4_lT_li.has_recursion, 0
	.set _ZL19rocblas_scal_kernelIiLi256EDF16_DF16_DF16_PDF16_EviT3_lT4_lT_li.has_indirect_call, 0
	.section	.AMDGPU.csdata,"",@progbits
; Kernel info:
; codeLenInByte = 304
; TotalNumSgprs: 17
; NumVgprs: 5
; ScratchSize: 0
; MemoryBound: 0
; FloatMode: 240
; IeeeMode: 1
; LDSByteSize: 0 bytes/workgroup (compile time only)
; SGPRBlocks: 0
; VGPRBlocks: 0
; NumSGPRsForWavesPerEU: 17
; NumVGPRsForWavesPerEU: 5
; NamedBarCnt: 0
; Occupancy: 16
; WaveLimiterHint : 0
; COMPUTE_PGM_RSRC2:SCRATCH_EN: 0
; COMPUTE_PGM_RSRC2:USER_SGPR: 2
; COMPUTE_PGM_RSRC2:TRAP_HANDLER: 0
; COMPUTE_PGM_RSRC2:TGID_X_EN: 1
; COMPUTE_PGM_RSRC2:TGID_Y_EN: 0
; COMPUTE_PGM_RSRC2:TGID_Z_EN: 1
; COMPUTE_PGM_RSRC2:TIDIG_COMP_CNT: 0
	.section	.text._ZL19rocblas_scal_kernelIlLi256EDF16_DF16_PKDF16_PDF16_EviT3_lT4_lT_li,"axG",@progbits,_ZL19rocblas_scal_kernelIlLi256EDF16_DF16_PKDF16_PDF16_EviT3_lT4_lT_li,comdat
	.globl	_ZL19rocblas_scal_kernelIlLi256EDF16_DF16_PKDF16_PDF16_EviT3_lT4_lT_li ; -- Begin function _ZL19rocblas_scal_kernelIlLi256EDF16_DF16_PKDF16_PDF16_EviT3_lT4_lT_li
	.p2align	8
	.type	_ZL19rocblas_scal_kernelIlLi256EDF16_DF16_PKDF16_PDF16_EviT3_lT4_lT_li,@function
_ZL19rocblas_scal_kernelIlLi256EDF16_DF16_PKDF16_PDF16_EviT3_lT4_lT_li: ; @_ZL19rocblas_scal_kernelIlLi256EDF16_DF16_PKDF16_PDF16_EviT3_lT4_lT_li
; %bb.0:
	s_load_b32 s16, s[0:1], 0x38
	s_bfe_u32 s2, ttmp6, 0x40014
	s_lshr_b32 s3, ttmp7, 16
	s_add_co_i32 s2, s2, 1
	s_bfe_u32 s4, ttmp6, 0x40008
	s_mul_i32 s2, s3, s2
	s_getreg_b32 s17, hwreg(HW_REG_IB_STS2, 6, 4)
	s_add_co_i32 s4, s4, s2
	s_cmp_eq_u32 s17, 0
	s_cselect_b32 s2, s3, s4
	s_mov_b32 s3, 0
	s_wait_kmcnt 0x0
	s_cmp_ge_u32 s2, s16
	s_cbranch_scc1 .LBB6_5
; %bb.1:
	s_clause 0x1
	s_load_b256 s[4:11], s[0:1], 0x8
	s_load_b128 s[12:15], s[0:1], 0x28
	s_bfe_u32 s18, ttmp6, 0x4000c
	s_and_b32 s19, ttmp6, 15
	s_add_co_i32 s18, s18, 1
	v_mov_b32_e32 v1, 0
	s_mul_i32 s18, ttmp9, s18
	s_delay_alu instid0(SALU_CYCLE_1) | instskip(SKIP_4) | instid1(SALU_CYCLE_1)
	s_add_co_i32 s19, s19, s18
	s_wait_kmcnt 0x0
	s_lshl_b64 s[10:11], s[10:11], 1
	s_cmp_eq_u32 s17, 0
	s_cselect_b32 s17, ttmp9, s19
	v_lshl_or_b32 v0, s17, 8, v0
	s_delay_alu instid0(VALU_DEP_1)
	v_mul_u64_e32 v[2:3], s[12:13], v[0:1]
	s_load_b32 s12, s[0:1], 0x0
	s_wait_xcnt 0x0
	s_add_nc_u64 s[0:1], s[8:9], s[10:11]
	s_wait_kmcnt 0x0
	v_cmp_gt_u32_e32 vcc_lo, s12, v0
	s_delay_alu instid0(VALU_DEP_2)
	v_lshl_add_u64 v[2:3], v[2:3], 1, s[0:1]
	s_branch .LBB6_3
.LBB6_2:                                ;   in Loop: Header=BB6_3 Depth=1
	s_wait_xcnt 0x0
	s_or_b32 exec_lo, exec_lo, s0
	s_add_co_i32 s2, s2, 0x10000
	s_delay_alu instid0(SALU_CYCLE_1)
	s_cmp_lt_u32 s2, s16
	s_cbranch_scc0 .LBB6_5
.LBB6_3:                                ; =>This Inner Loop Header: Depth=1
	s_mul_u64 s[0:1], s[6:7], s[2:3]
	s_delay_alu instid0(SALU_CYCLE_1) | instskip(NEXT) | instid1(SALU_CYCLE_1)
	s_lshl_b64 s[0:1], s[0:1], 1
	s_add_nc_u64 s[0:1], s[4:5], s[0:1]
	global_load_u16 v0, v1, s[0:1]
	s_wait_loadcnt 0x0
	s_wait_xcnt 0x0
	v_readfirstlane_b32 s0, v0
	s_cmp_neq_f16 s0, 0x3c00
	s_cselect_b32 s0, -1, 0
	s_delay_alu instid0(SALU_CYCLE_1) | instskip(NEXT) | instid1(SALU_CYCLE_1)
	s_and_b32 s1, vcc_lo, s0
	s_and_saveexec_b32 s0, s1
	s_cbranch_execz .LBB6_2
; %bb.4:                                ;   in Loop: Header=BB6_3 Depth=1
	s_mul_u64 s[8:9], s[14:15], s[2:3]
	s_delay_alu instid0(SALU_CYCLE_1)
	v_lshl_add_u64 v[4:5], s[8:9], 1, v[2:3]
	global_load_u16 v6, v[4:5], off
	s_wait_loadcnt 0x0
	v_mul_f16_e32 v0, v0, v6
	global_store_b16 v[4:5], v0, off
	s_branch .LBB6_2
.LBB6_5:
	s_endpgm
	.section	.rodata,"a",@progbits
	.p2align	6, 0x0
	.amdhsa_kernel _ZL19rocblas_scal_kernelIlLi256EDF16_DF16_PKDF16_PDF16_EviT3_lT4_lT_li
		.amdhsa_group_segment_fixed_size 0
		.amdhsa_private_segment_fixed_size 0
		.amdhsa_kernarg_size 60
		.amdhsa_user_sgpr_count 2
		.amdhsa_user_sgpr_dispatch_ptr 0
		.amdhsa_user_sgpr_queue_ptr 0
		.amdhsa_user_sgpr_kernarg_segment_ptr 1
		.amdhsa_user_sgpr_dispatch_id 0
		.amdhsa_user_sgpr_kernarg_preload_length 0
		.amdhsa_user_sgpr_kernarg_preload_offset 0
		.amdhsa_user_sgpr_private_segment_size 0
		.amdhsa_wavefront_size32 1
		.amdhsa_uses_dynamic_stack 0
		.amdhsa_enable_private_segment 0
		.amdhsa_system_sgpr_workgroup_id_x 1
		.amdhsa_system_sgpr_workgroup_id_y 0
		.amdhsa_system_sgpr_workgroup_id_z 1
		.amdhsa_system_sgpr_workgroup_info 0
		.amdhsa_system_vgpr_workitem_id 0
		.amdhsa_next_free_vgpr 7
		.amdhsa_next_free_sgpr 20
		.amdhsa_named_barrier_count 0
		.amdhsa_reserve_vcc 1
		.amdhsa_float_round_mode_32 0
		.amdhsa_float_round_mode_16_64 0
		.amdhsa_float_denorm_mode_32 3
		.amdhsa_float_denorm_mode_16_64 3
		.amdhsa_fp16_overflow 0
		.amdhsa_memory_ordered 1
		.amdhsa_forward_progress 1
		.amdhsa_inst_pref_size 3
		.amdhsa_round_robin_scheduling 0
		.amdhsa_exception_fp_ieee_invalid_op 0
		.amdhsa_exception_fp_denorm_src 0
		.amdhsa_exception_fp_ieee_div_zero 0
		.amdhsa_exception_fp_ieee_overflow 0
		.amdhsa_exception_fp_ieee_underflow 0
		.amdhsa_exception_fp_ieee_inexact 0
		.amdhsa_exception_int_div_zero 0
	.end_amdhsa_kernel
	.section	.text._ZL19rocblas_scal_kernelIlLi256EDF16_DF16_PKDF16_PDF16_EviT3_lT4_lT_li,"axG",@progbits,_ZL19rocblas_scal_kernelIlLi256EDF16_DF16_PKDF16_PDF16_EviT3_lT4_lT_li,comdat
.Lfunc_end6:
	.size	_ZL19rocblas_scal_kernelIlLi256EDF16_DF16_PKDF16_PDF16_EviT3_lT4_lT_li, .Lfunc_end6-_ZL19rocblas_scal_kernelIlLi256EDF16_DF16_PKDF16_PDF16_EviT3_lT4_lT_li
                                        ; -- End function
	.set _ZL19rocblas_scal_kernelIlLi256EDF16_DF16_PKDF16_PDF16_EviT3_lT4_lT_li.num_vgpr, 7
	.set _ZL19rocblas_scal_kernelIlLi256EDF16_DF16_PKDF16_PDF16_EviT3_lT4_lT_li.num_agpr, 0
	.set _ZL19rocblas_scal_kernelIlLi256EDF16_DF16_PKDF16_PDF16_EviT3_lT4_lT_li.numbered_sgpr, 20
	.set _ZL19rocblas_scal_kernelIlLi256EDF16_DF16_PKDF16_PDF16_EviT3_lT4_lT_li.num_named_barrier, 0
	.set _ZL19rocblas_scal_kernelIlLi256EDF16_DF16_PKDF16_PDF16_EviT3_lT4_lT_li.private_seg_size, 0
	.set _ZL19rocblas_scal_kernelIlLi256EDF16_DF16_PKDF16_PDF16_EviT3_lT4_lT_li.uses_vcc, 1
	.set _ZL19rocblas_scal_kernelIlLi256EDF16_DF16_PKDF16_PDF16_EviT3_lT4_lT_li.uses_flat_scratch, 0
	.set _ZL19rocblas_scal_kernelIlLi256EDF16_DF16_PKDF16_PDF16_EviT3_lT4_lT_li.has_dyn_sized_stack, 0
	.set _ZL19rocblas_scal_kernelIlLi256EDF16_DF16_PKDF16_PDF16_EviT3_lT4_lT_li.has_recursion, 0
	.set _ZL19rocblas_scal_kernelIlLi256EDF16_DF16_PKDF16_PDF16_EviT3_lT4_lT_li.has_indirect_call, 0
	.section	.AMDGPU.csdata,"",@progbits
; Kernel info:
; codeLenInByte = 344
; TotalNumSgprs: 22
; NumVgprs: 7
; ScratchSize: 0
; MemoryBound: 0
; FloatMode: 240
; IeeeMode: 1
; LDSByteSize: 0 bytes/workgroup (compile time only)
; SGPRBlocks: 0
; VGPRBlocks: 0
; NumSGPRsForWavesPerEU: 22
; NumVGPRsForWavesPerEU: 7
; NamedBarCnt: 0
; Occupancy: 16
; WaveLimiterHint : 0
; COMPUTE_PGM_RSRC2:SCRATCH_EN: 0
; COMPUTE_PGM_RSRC2:USER_SGPR: 2
; COMPUTE_PGM_RSRC2:TRAP_HANDLER: 0
; COMPUTE_PGM_RSRC2:TGID_X_EN: 1
; COMPUTE_PGM_RSRC2:TGID_Y_EN: 0
; COMPUTE_PGM_RSRC2:TGID_Z_EN: 1
; COMPUTE_PGM_RSRC2:TIDIG_COMP_CNT: 0
	.section	.text._ZL19rocblas_scal_kernelIlLi256EDF16_DF16_DF16_PDF16_EviT3_lT4_lT_li,"axG",@progbits,_ZL19rocblas_scal_kernelIlLi256EDF16_DF16_DF16_PDF16_EviT3_lT4_lT_li,comdat
	.globl	_ZL19rocblas_scal_kernelIlLi256EDF16_DF16_DF16_PDF16_EviT3_lT4_lT_li ; -- Begin function _ZL19rocblas_scal_kernelIlLi256EDF16_DF16_DF16_PDF16_EviT3_lT4_lT_li
	.p2align	8
	.type	_ZL19rocblas_scal_kernelIlLi256EDF16_DF16_DF16_PDF16_EviT3_lT4_lT_li,@function
_ZL19rocblas_scal_kernelIlLi256EDF16_DF16_DF16_PDF16_EviT3_lT4_lT_li: ; @_ZL19rocblas_scal_kernelIlLi256EDF16_DF16_DF16_PDF16_EviT3_lT4_lT_li
; %bb.0:
	s_load_b32 s12, s[0:1], 0x30
	s_bfe_u32 s2, ttmp6, 0x40014
	s_lshr_b32 s3, ttmp7, 16
	s_add_co_i32 s2, s2, 1
	s_bfe_u32 s4, ttmp6, 0x40008
	s_mul_i32 s2, s3, s2
	s_getreg_b32 s13, hwreg(HW_REG_IB_STS2, 6, 4)
	s_add_co_i32 s4, s4, s2
	s_cmp_eq_u32 s13, 0
	s_cselect_b32 s2, s3, s4
	s_mov_b32 s3, 0
	s_wait_kmcnt 0x0
	s_cmp_ge_u32 s2, s12
	s_cbranch_scc1 .LBB7_5
; %bb.1:
	s_load_b256 s[4:11], s[0:1], 0x10
	s_bfe_u32 s14, ttmp6, 0x4000c
	s_and_b32 s15, ttmp6, 15
	s_add_co_i32 s14, s14, 1
	v_mov_b32_e32 v1, 0
	s_mul_i32 s14, ttmp9, s14
	s_wait_xcnt 0x0
	s_load_b64 s[0:1], s[0:1], 0x0
	s_add_co_i32 s15, s15, s14
	s_wait_kmcnt 0x0
	s_lshl_b64 s[6:7], s[6:7], 1
	s_cmp_eq_u32 s13, 0
	s_add_nc_u64 s[4:5], s[4:5], s[6:7]
	s_cselect_b32 s13, ttmp9, s15
	s_delay_alu instid0(SALU_CYCLE_1) | instskip(SKIP_1) | instid1(VALU_DEP_1)
	v_lshl_or_b32 v0, s13, 8, v0
	s_cmp_neq_f16 s1, 0x3c00
	v_mul_u64_e32 v[2:3], s[8:9], v[0:1]
	v_cmp_gt_u32_e32 vcc_lo, s0, v0
	s_cselect_b32 s0, -1, 0
	s_delay_alu instid0(SALU_CYCLE_1) | instskip(NEXT) | instid1(VALU_DEP_2)
	s_and_b32 s0, vcc_lo, s0
	v_lshl_add_u64 v[0:1], v[2:3], 1, s[4:5]
	s_branch .LBB7_3
.LBB7_2:                                ;   in Loop: Header=BB7_3 Depth=1
	s_wait_xcnt 0x0
	s_or_b32 exec_lo, exec_lo, s4
	s_add_co_i32 s2, s2, 0x10000
	s_delay_alu instid0(SALU_CYCLE_1)
	s_cmp_lt_u32 s2, s12
	s_cbranch_scc0 .LBB7_5
.LBB7_3:                                ; =>This Inner Loop Header: Depth=1
	s_and_saveexec_b32 s4, s0
	s_cbranch_execz .LBB7_2
; %bb.4:                                ;   in Loop: Header=BB7_3 Depth=1
	s_mul_u64 s[6:7], s[10:11], s[2:3]
	s_delay_alu instid0(SALU_CYCLE_1)
	v_lshl_add_u64 v[2:3], s[6:7], 1, v[0:1]
	global_load_u16 v4, v[2:3], off
	s_wait_loadcnt 0x0
	v_mul_f16_e32 v4, s1, v4
	global_store_b16 v[2:3], v4, off
	s_branch .LBB7_2
.LBB7_5:
	s_endpgm
	.section	.rodata,"a",@progbits
	.p2align	6, 0x0
	.amdhsa_kernel _ZL19rocblas_scal_kernelIlLi256EDF16_DF16_DF16_PDF16_EviT3_lT4_lT_li
		.amdhsa_group_segment_fixed_size 0
		.amdhsa_private_segment_fixed_size 0
		.amdhsa_kernarg_size 52
		.amdhsa_user_sgpr_count 2
		.amdhsa_user_sgpr_dispatch_ptr 0
		.amdhsa_user_sgpr_queue_ptr 0
		.amdhsa_user_sgpr_kernarg_segment_ptr 1
		.amdhsa_user_sgpr_dispatch_id 0
		.amdhsa_user_sgpr_kernarg_preload_length 0
		.amdhsa_user_sgpr_kernarg_preload_offset 0
		.amdhsa_user_sgpr_private_segment_size 0
		.amdhsa_wavefront_size32 1
		.amdhsa_uses_dynamic_stack 0
		.amdhsa_enable_private_segment 0
		.amdhsa_system_sgpr_workgroup_id_x 1
		.amdhsa_system_sgpr_workgroup_id_y 0
		.amdhsa_system_sgpr_workgroup_id_z 1
		.amdhsa_system_sgpr_workgroup_info 0
		.amdhsa_system_vgpr_workitem_id 0
		.amdhsa_next_free_vgpr 5
		.amdhsa_next_free_sgpr 16
		.amdhsa_named_barrier_count 0
		.amdhsa_reserve_vcc 1
		.amdhsa_float_round_mode_32 0
		.amdhsa_float_round_mode_16_64 0
		.amdhsa_float_denorm_mode_32 3
		.amdhsa_float_denorm_mode_16_64 3
		.amdhsa_fp16_overflow 0
		.amdhsa_memory_ordered 1
		.amdhsa_forward_progress 1
		.amdhsa_inst_pref_size 3
		.amdhsa_round_robin_scheduling 0
		.amdhsa_exception_fp_ieee_invalid_op 0
		.amdhsa_exception_fp_denorm_src 0
		.amdhsa_exception_fp_ieee_div_zero 0
		.amdhsa_exception_fp_ieee_overflow 0
		.amdhsa_exception_fp_ieee_underflow 0
		.amdhsa_exception_fp_ieee_inexact 0
		.amdhsa_exception_int_div_zero 0
	.end_amdhsa_kernel
	.section	.text._ZL19rocblas_scal_kernelIlLi256EDF16_DF16_DF16_PDF16_EviT3_lT4_lT_li,"axG",@progbits,_ZL19rocblas_scal_kernelIlLi256EDF16_DF16_DF16_PDF16_EviT3_lT4_lT_li,comdat
.Lfunc_end7:
	.size	_ZL19rocblas_scal_kernelIlLi256EDF16_DF16_DF16_PDF16_EviT3_lT4_lT_li, .Lfunc_end7-_ZL19rocblas_scal_kernelIlLi256EDF16_DF16_DF16_PDF16_EviT3_lT4_lT_li
                                        ; -- End function
	.set _ZL19rocblas_scal_kernelIlLi256EDF16_DF16_DF16_PDF16_EviT3_lT4_lT_li.num_vgpr, 5
	.set _ZL19rocblas_scal_kernelIlLi256EDF16_DF16_DF16_PDF16_EviT3_lT4_lT_li.num_agpr, 0
	.set _ZL19rocblas_scal_kernelIlLi256EDF16_DF16_DF16_PDF16_EviT3_lT4_lT_li.numbered_sgpr, 16
	.set _ZL19rocblas_scal_kernelIlLi256EDF16_DF16_DF16_PDF16_EviT3_lT4_lT_li.num_named_barrier, 0
	.set _ZL19rocblas_scal_kernelIlLi256EDF16_DF16_DF16_PDF16_EviT3_lT4_lT_li.private_seg_size, 0
	.set _ZL19rocblas_scal_kernelIlLi256EDF16_DF16_DF16_PDF16_EviT3_lT4_lT_li.uses_vcc, 1
	.set _ZL19rocblas_scal_kernelIlLi256EDF16_DF16_DF16_PDF16_EviT3_lT4_lT_li.uses_flat_scratch, 0
	.set _ZL19rocblas_scal_kernelIlLi256EDF16_DF16_DF16_PDF16_EviT3_lT4_lT_li.has_dyn_sized_stack, 0
	.set _ZL19rocblas_scal_kernelIlLi256EDF16_DF16_DF16_PDF16_EviT3_lT4_lT_li.has_recursion, 0
	.set _ZL19rocblas_scal_kernelIlLi256EDF16_DF16_DF16_PDF16_EviT3_lT4_lT_li.has_indirect_call, 0
	.section	.AMDGPU.csdata,"",@progbits
; Kernel info:
; codeLenInByte = 280
; TotalNumSgprs: 18
; NumVgprs: 5
; ScratchSize: 0
; MemoryBound: 0
; FloatMode: 240
; IeeeMode: 1
; LDSByteSize: 0 bytes/workgroup (compile time only)
; SGPRBlocks: 0
; VGPRBlocks: 0
; NumSGPRsForWavesPerEU: 18
; NumVGPRsForWavesPerEU: 5
; NamedBarCnt: 0
; Occupancy: 16
; WaveLimiterHint : 0
; COMPUTE_PGM_RSRC2:SCRATCH_EN: 0
; COMPUTE_PGM_RSRC2:USER_SGPR: 2
; COMPUTE_PGM_RSRC2:TRAP_HANDLER: 0
; COMPUTE_PGM_RSRC2:TGID_X_EN: 1
; COMPUTE_PGM_RSRC2:TGID_Y_EN: 0
; COMPUTE_PGM_RSRC2:TGID_Z_EN: 1
; COMPUTE_PGM_RSRC2:TIDIG_COMP_CNT: 0
	.section	.text._ZL22rocblas_sscal_2_kernelILi256EDF16_DF16_PKfPDF16_EviT2_lT3_lli,"axG",@progbits,_ZL22rocblas_sscal_2_kernelILi256EDF16_DF16_PKfPDF16_EviT2_lT3_lli,comdat
	.globl	_ZL22rocblas_sscal_2_kernelILi256EDF16_DF16_PKfPDF16_EviT2_lT3_lli ; -- Begin function _ZL22rocblas_sscal_2_kernelILi256EDF16_DF16_PKfPDF16_EviT2_lT3_lli
	.p2align	8
	.type	_ZL22rocblas_sscal_2_kernelILi256EDF16_DF16_PKfPDF16_EviT2_lT3_lli,@function
_ZL22rocblas_sscal_2_kernelILi256EDF16_DF16_PKfPDF16_EviT2_lT3_lli: ; @_ZL22rocblas_sscal_2_kernelILi256EDF16_DF16_PKfPDF16_EviT2_lT3_lli
; %bb.0:
	s_load_b32 s12, s[0:1], 0x30
	s_bfe_u32 s2, ttmp6, 0x40014
	s_lshr_b32 s3, ttmp7, 16
	s_add_co_i32 s2, s2, 1
	s_bfe_u32 s4, ttmp6, 0x40008
	s_mul_i32 s2, s3, s2
	s_getreg_b32 s13, hwreg(HW_REG_IB_STS2, 6, 4)
	s_add_co_i32 s4, s4, s2
	s_cmp_eq_u32 s13, 0
	s_cselect_b32 s2, s3, s4
	s_mov_b32 s3, 0
	s_wait_kmcnt 0x0
	s_cmp_ge_u32 s2, s12
	s_cbranch_scc1 .LBB8_9
; %bb.1:
	s_clause 0x2
	s_load_b128 s[4:7], s[0:1], 0x20
	s_load_b32 s16, s[0:1], 0x0
	s_load_b64 s[14:15], s[0:1], 0x18
	s_bfe_u32 s17, ttmp6, 0x4000c
	s_load_b128 s[8:11], s[0:1], 0x8
	s_add_co_i32 s17, s17, 1
	s_wait_xcnt 0x0
	s_and_b32 s0, ttmp6, 15
	s_mul_i32 s1, ttmp9, s17
	v_lshlrev_b32_e32 v0, 1, v0
	s_add_co_i32 s0, s0, s1
	s_wait_kmcnt 0x0
	s_lshl_b64 s[4:5], s[4:5], 1
	s_cmp_eq_u32 s13, 0
	s_add_nc_u64 s[4:5], s[14:15], s[4:5]
	s_cselect_b32 s0, ttmp9, s0
	s_bitcmp1_b32 s16, 0
	v_lshl_or_b32 v0, s0, 9, v0
	s_cselect_b32 s1, -1, 0
	s_add_co_i32 s0, s16, -1
	s_delay_alu instid0(VALU_DEP_1) | instskip(SKIP_1) | instid1(VALU_DEP_2)
	v_or_b32_e32 v1, 1, v0
	v_cmp_eq_u32_e64 s0, s0, v0
	v_cmp_gt_u32_e32 vcc_lo, s16, v1
	v_mov_b32_e32 v1, 0
	s_and_b32 s1, s1, s0
	s_branch .LBB8_4
.LBB8_2:                                ;   in Loop: Header=BB8_4 Depth=1
	s_wait_xcnt 0x0
	s_or_b32 exec_lo, exec_lo, s13
.LBB8_3:                                ;   in Loop: Header=BB8_4 Depth=1
	s_add_co_i32 s2, s2, 0x10000
	s_delay_alu instid0(SALU_CYCLE_1)
	s_cmp_lt_u32 s2, s12
	s_cbranch_scc0 .LBB8_9
.LBB8_4:                                ; =>This Inner Loop Header: Depth=1
	s_wait_xcnt 0x0
	s_mul_u64 s[14:15], s[10:11], s[2:3]
	s_delay_alu instid0(SALU_CYCLE_1) | instskip(NEXT) | instid1(SALU_CYCLE_1)
	s_lshl_b64 s[14:15], s[14:15], 2
	s_add_nc_u64 s[14:15], s[8:9], s[14:15]
	s_load_b32 s0, s[14:15], 0x0
	s_wait_kmcnt 0x0
	s_cmp_eq_f32 s0, 1.0
	s_cbranch_scc1 .LBB8_3
; %bb.5:                                ;   in Loop: Header=BB8_4 Depth=1
	s_wait_xcnt 0x0
	s_mul_u64 s[14:15], s[6:7], s[2:3]
	s_delay_alu instid0(SALU_CYCLE_1) | instskip(NEXT) | instid1(SALU_CYCLE_1)
	s_lshl_b64 s[14:15], s[14:15], 1
	s_add_nc_u64 s[14:15], s[4:5], s[14:15]
	s_delay_alu instid0(SALU_CYCLE_1)
	v_lshl_add_u64 v[2:3], v[0:1], 1, s[14:15]
	s_and_saveexec_b32 s13, vcc_lo
	s_cbranch_execz .LBB8_7
; %bb.6:                                ;   in Loop: Header=BB8_4 Depth=1
	global_load_b32 v4, v[2:3], off
	s_wait_loadcnt 0x0
	v_lshrrev_b32_e32 v5, 16, v4
	v_cvt_f32_f16_e32 v4, v4
	s_delay_alu instid0(VALU_DEP_2) | instskip(NEXT) | instid1(VALU_DEP_1)
	v_cvt_f32_f16_e32 v5, v5
	v_pk_mul_f32 v[4:5], s[0:1], v[4:5] op_sel_hi:[0,1]
	s_delay_alu instid0(VALU_DEP_1)
	v_cvt_pk_f16_f32 v4, v4, v5
	global_store_b32 v[2:3], v4, off
.LBB8_7:                                ;   in Loop: Header=BB8_4 Depth=1
	s_wait_xcnt 0x0
	s_or_b32 exec_lo, exec_lo, s13
	s_and_saveexec_b32 s13, s1
	s_cbranch_execz .LBB8_2
; %bb.8:                                ;   in Loop: Header=BB8_4 Depth=1
	global_load_u16 v4, v[2:3], off
	s_wait_loadcnt 0x0
	v_fma_mixlo_f16 v4, s0, v4, 0 op_sel_hi:[0,1,0]
	global_store_b16 v[2:3], v4, off
	s_branch .LBB8_2
.LBB8_9:
	s_endpgm
	.section	.rodata,"a",@progbits
	.p2align	6, 0x0
	.amdhsa_kernel _ZL22rocblas_sscal_2_kernelILi256EDF16_DF16_PKfPDF16_EviT2_lT3_lli
		.amdhsa_group_segment_fixed_size 0
		.amdhsa_private_segment_fixed_size 0
		.amdhsa_kernarg_size 52
		.amdhsa_user_sgpr_count 2
		.amdhsa_user_sgpr_dispatch_ptr 0
		.amdhsa_user_sgpr_queue_ptr 0
		.amdhsa_user_sgpr_kernarg_segment_ptr 1
		.amdhsa_user_sgpr_dispatch_id 0
		.amdhsa_user_sgpr_kernarg_preload_length 0
		.amdhsa_user_sgpr_kernarg_preload_offset 0
		.amdhsa_user_sgpr_private_segment_size 0
		.amdhsa_wavefront_size32 1
		.amdhsa_uses_dynamic_stack 0
		.amdhsa_enable_private_segment 0
		.amdhsa_system_sgpr_workgroup_id_x 1
		.amdhsa_system_sgpr_workgroup_id_y 0
		.amdhsa_system_sgpr_workgroup_id_z 1
		.amdhsa_system_sgpr_workgroup_info 0
		.amdhsa_system_vgpr_workitem_id 0
		.amdhsa_next_free_vgpr 6
		.amdhsa_next_free_sgpr 18
		.amdhsa_named_barrier_count 0
		.amdhsa_reserve_vcc 1
		.amdhsa_float_round_mode_32 0
		.amdhsa_float_round_mode_16_64 0
		.amdhsa_float_denorm_mode_32 3
		.amdhsa_float_denorm_mode_16_64 3
		.amdhsa_fp16_overflow 0
		.amdhsa_memory_ordered 1
		.amdhsa_forward_progress 1
		.amdhsa_inst_pref_size 4
		.amdhsa_round_robin_scheduling 0
		.amdhsa_exception_fp_ieee_invalid_op 0
		.amdhsa_exception_fp_denorm_src 0
		.amdhsa_exception_fp_ieee_div_zero 0
		.amdhsa_exception_fp_ieee_overflow 0
		.amdhsa_exception_fp_ieee_underflow 0
		.amdhsa_exception_fp_ieee_inexact 0
		.amdhsa_exception_int_div_zero 0
	.end_amdhsa_kernel
	.section	.text._ZL22rocblas_sscal_2_kernelILi256EDF16_DF16_PKfPDF16_EviT2_lT3_lli,"axG",@progbits,_ZL22rocblas_sscal_2_kernelILi256EDF16_DF16_PKfPDF16_EviT2_lT3_lli,comdat
.Lfunc_end8:
	.size	_ZL22rocblas_sscal_2_kernelILi256EDF16_DF16_PKfPDF16_EviT2_lT3_lli, .Lfunc_end8-_ZL22rocblas_sscal_2_kernelILi256EDF16_DF16_PKfPDF16_EviT2_lT3_lli
                                        ; -- End function
	.set _ZL22rocblas_sscal_2_kernelILi256EDF16_DF16_PKfPDF16_EviT2_lT3_lli.num_vgpr, 6
	.set _ZL22rocblas_sscal_2_kernelILi256EDF16_DF16_PKfPDF16_EviT2_lT3_lli.num_agpr, 0
	.set _ZL22rocblas_sscal_2_kernelILi256EDF16_DF16_PKfPDF16_EviT2_lT3_lli.numbered_sgpr, 18
	.set _ZL22rocblas_sscal_2_kernelILi256EDF16_DF16_PKfPDF16_EviT2_lT3_lli.num_named_barrier, 0
	.set _ZL22rocblas_sscal_2_kernelILi256EDF16_DF16_PKfPDF16_EviT2_lT3_lli.private_seg_size, 0
	.set _ZL22rocblas_sscal_2_kernelILi256EDF16_DF16_PKfPDF16_EviT2_lT3_lli.uses_vcc, 1
	.set _ZL22rocblas_sscal_2_kernelILi256EDF16_DF16_PKfPDF16_EviT2_lT3_lli.uses_flat_scratch, 0
	.set _ZL22rocblas_sscal_2_kernelILi256EDF16_DF16_PKfPDF16_EviT2_lT3_lli.has_dyn_sized_stack, 0
	.set _ZL22rocblas_sscal_2_kernelILi256EDF16_DF16_PKfPDF16_EviT2_lT3_lli.has_recursion, 0
	.set _ZL22rocblas_sscal_2_kernelILi256EDF16_DF16_PKfPDF16_EviT2_lT3_lli.has_indirect_call, 0
	.section	.AMDGPU.csdata,"",@progbits
; Kernel info:
; codeLenInByte = 440
; TotalNumSgprs: 20
; NumVgprs: 6
; ScratchSize: 0
; MemoryBound: 0
; FloatMode: 240
; IeeeMode: 1
; LDSByteSize: 0 bytes/workgroup (compile time only)
; SGPRBlocks: 0
; VGPRBlocks: 0
; NumSGPRsForWavesPerEU: 20
; NumVGPRsForWavesPerEU: 6
; NamedBarCnt: 0
; Occupancy: 16
; WaveLimiterHint : 0
; COMPUTE_PGM_RSRC2:SCRATCH_EN: 0
; COMPUTE_PGM_RSRC2:USER_SGPR: 2
; COMPUTE_PGM_RSRC2:TRAP_HANDLER: 0
; COMPUTE_PGM_RSRC2:TGID_X_EN: 1
; COMPUTE_PGM_RSRC2:TGID_Y_EN: 0
; COMPUTE_PGM_RSRC2:TGID_Z_EN: 1
; COMPUTE_PGM_RSRC2:TIDIG_COMP_CNT: 0
	.section	.text._ZL22rocblas_sscal_2_kernelILi256EDF16_DF16_fPDF16_EviT2_lT3_lli,"axG",@progbits,_ZL22rocblas_sscal_2_kernelILi256EDF16_DF16_fPDF16_EviT2_lT3_lli,comdat
	.globl	_ZL22rocblas_sscal_2_kernelILi256EDF16_DF16_fPDF16_EviT2_lT3_lli ; -- Begin function _ZL22rocblas_sscal_2_kernelILi256EDF16_DF16_fPDF16_EviT2_lT3_lli
	.p2align	8
	.type	_ZL22rocblas_sscal_2_kernelILi256EDF16_DF16_fPDF16_EviT2_lT3_lli,@function
_ZL22rocblas_sscal_2_kernelILi256EDF16_DF16_fPDF16_EviT2_lT3_lli: ; @_ZL22rocblas_sscal_2_kernelILi256EDF16_DF16_fPDF16_EviT2_lT3_lli
; %bb.0:
	s_load_b32 s10, s[0:1], 0x28
	s_bfe_u32 s2, ttmp6, 0x40014
	s_lshr_b32 s3, ttmp7, 16
	s_add_co_i32 s2, s2, 1
	s_bfe_u32 s4, ttmp6, 0x40008
	s_mul_i32 s2, s3, s2
	s_getreg_b32 s11, hwreg(HW_REG_IB_STS2, 6, 4)
	s_add_co_i32 s4, s4, s2
	s_cmp_eq_u32 s11, 0
	s_cselect_b32 s2, s3, s4
	s_mov_b32 s3, 0
	s_wait_kmcnt 0x0
	s_cmp_ge_u32 s2, s10
	s_cbranch_scc1 .LBB9_9
; %bb.1:
	s_clause 0x1
	s_load_b128 s[4:7], s[0:1], 0x18
	s_load_b64 s[8:9], s[0:1], 0x0
	s_bfe_u32 s12, ttmp6, 0x4000c
	s_and_b32 s14, ttmp6, 15
	s_add_co_i32 s12, s12, 1
	v_dual_mov_b32 v1, 0 :: v_dual_lshlrev_b32 v0, 1, v0
	s_mul_i32 s15, ttmp9, s12
	s_load_b64 s[12:13], s[0:1], 0x10
	s_add_co_i32 s14, s14, s15
	s_wait_kmcnt 0x0
	s_lshl_b64 s[4:5], s[4:5], 1
	s_cmp_eq_u32 s11, 0
	s_cselect_b32 s0, ttmp9, s14
	s_cmp_neq_f32 s9, 1.0
	v_lshl_or_b32 v0, s0, 9, v0
	s_add_nc_u64 s[4:5], s[12:13], s[4:5]
	s_cselect_b32 s1, -1, 0
	s_bitcmp1_b32 s8, 0
	s_delay_alu instid0(VALU_DEP_1) | instskip(SKIP_2) | instid1(SALU_CYCLE_1)
	v_or_b32_e32 v2, 1, v0
	s_cselect_b32 s11, -1, 0
	s_add_co_i32 s0, s8, -1
	v_cmp_eq_u32_e32 vcc_lo, s0, v0
	s_delay_alu instid0(VALU_DEP_2)
	v_cmp_gt_u32_e64 s0, s8, v2
	s_mov_b32 s8, s9
	s_and_b32 s11, s11, vcc_lo
	s_branch .LBB9_4
.LBB9_2:                                ;   in Loop: Header=BB9_4 Depth=1
	s_wait_xcnt 0x0
	s_or_b32 exec_lo, exec_lo, s12
.LBB9_3:                                ;   in Loop: Header=BB9_4 Depth=1
	s_add_co_i32 s2, s2, 0x10000
	s_delay_alu instid0(SALU_CYCLE_1)
	s_cmp_lt_u32 s2, s10
	s_cbranch_scc0 .LBB9_9
.LBB9_4:                                ; =>This Inner Loop Header: Depth=1
	s_and_not1_b32 vcc_lo, exec_lo, s1
	s_cbranch_vccnz .LBB9_3
; %bb.5:                                ;   in Loop: Header=BB9_4 Depth=1
	s_mul_u64 s[12:13], s[6:7], s[2:3]
	s_delay_alu instid0(SALU_CYCLE_1) | instskip(NEXT) | instid1(SALU_CYCLE_1)
	s_lshl_b64 s[12:13], s[12:13], 1
	s_add_nc_u64 s[12:13], s[4:5], s[12:13]
	s_delay_alu instid0(SALU_CYCLE_1)
	v_lshl_add_u64 v[2:3], v[0:1], 1, s[12:13]
	s_and_saveexec_b32 s12, s0
	s_cbranch_execz .LBB9_7
; %bb.6:                                ;   in Loop: Header=BB9_4 Depth=1
	global_load_b32 v4, v[2:3], off
	v_mov_b64_e32 v[6:7], s[8:9]
	s_wait_loadcnt 0x0
	v_lshrrev_b32_e32 v5, 16, v4
	v_cvt_f32_f16_e32 v4, v4
	s_delay_alu instid0(VALU_DEP_2) | instskip(NEXT) | instid1(VALU_DEP_1)
	v_cvt_f32_f16_e32 v5, v5
	v_pk_mul_f32 v[4:5], v[6:7], v[4:5]
	s_delay_alu instid0(VALU_DEP_1)
	v_cvt_pk_f16_f32 v4, v4, v5
	global_store_b32 v[2:3], v4, off
.LBB9_7:                                ;   in Loop: Header=BB9_4 Depth=1
	s_wait_xcnt 0x0
	s_or_b32 exec_lo, exec_lo, s12
	s_and_saveexec_b32 s12, s11
	s_cbranch_execz .LBB9_2
; %bb.8:                                ;   in Loop: Header=BB9_4 Depth=1
	global_load_u16 v4, v[2:3], off
	s_wait_loadcnt 0x0
	v_fma_mixlo_f16 v4, s9, v4, 0 op_sel_hi:[0,1,0]
	global_store_b16 v[2:3], v4, off
	s_branch .LBB9_2
.LBB9_9:
	s_endpgm
	.section	.rodata,"a",@progbits
	.p2align	6, 0x0
	.amdhsa_kernel _ZL22rocblas_sscal_2_kernelILi256EDF16_DF16_fPDF16_EviT2_lT3_lli
		.amdhsa_group_segment_fixed_size 0
		.amdhsa_private_segment_fixed_size 0
		.amdhsa_kernarg_size 44
		.amdhsa_user_sgpr_count 2
		.amdhsa_user_sgpr_dispatch_ptr 0
		.amdhsa_user_sgpr_queue_ptr 0
		.amdhsa_user_sgpr_kernarg_segment_ptr 1
		.amdhsa_user_sgpr_dispatch_id 0
		.amdhsa_user_sgpr_kernarg_preload_length 0
		.amdhsa_user_sgpr_kernarg_preload_offset 0
		.amdhsa_user_sgpr_private_segment_size 0
		.amdhsa_wavefront_size32 1
		.amdhsa_uses_dynamic_stack 0
		.amdhsa_enable_private_segment 0
		.amdhsa_system_sgpr_workgroup_id_x 1
		.amdhsa_system_sgpr_workgroup_id_y 0
		.amdhsa_system_sgpr_workgroup_id_z 1
		.amdhsa_system_sgpr_workgroup_info 0
		.amdhsa_system_vgpr_workitem_id 0
		.amdhsa_next_free_vgpr 8
		.amdhsa_next_free_sgpr 16
		.amdhsa_named_barrier_count 0
		.amdhsa_reserve_vcc 1
		.amdhsa_float_round_mode_32 0
		.amdhsa_float_round_mode_16_64 0
		.amdhsa_float_denorm_mode_32 3
		.amdhsa_float_denorm_mode_16_64 3
		.amdhsa_fp16_overflow 0
		.amdhsa_memory_ordered 1
		.amdhsa_forward_progress 1
		.amdhsa_inst_pref_size 4
		.amdhsa_round_robin_scheduling 0
		.amdhsa_exception_fp_ieee_invalid_op 0
		.amdhsa_exception_fp_denorm_src 0
		.amdhsa_exception_fp_ieee_div_zero 0
		.amdhsa_exception_fp_ieee_overflow 0
		.amdhsa_exception_fp_ieee_underflow 0
		.amdhsa_exception_fp_ieee_inexact 0
		.amdhsa_exception_int_div_zero 0
	.end_amdhsa_kernel
	.section	.text._ZL22rocblas_sscal_2_kernelILi256EDF16_DF16_fPDF16_EviT2_lT3_lli,"axG",@progbits,_ZL22rocblas_sscal_2_kernelILi256EDF16_DF16_fPDF16_EviT2_lT3_lli,comdat
.Lfunc_end9:
	.size	_ZL22rocblas_sscal_2_kernelILi256EDF16_DF16_fPDF16_EviT2_lT3_lli, .Lfunc_end9-_ZL22rocblas_sscal_2_kernelILi256EDF16_DF16_fPDF16_EviT2_lT3_lli
                                        ; -- End function
	.set _ZL22rocblas_sscal_2_kernelILi256EDF16_DF16_fPDF16_EviT2_lT3_lli.num_vgpr, 8
	.set _ZL22rocblas_sscal_2_kernelILi256EDF16_DF16_fPDF16_EviT2_lT3_lli.num_agpr, 0
	.set _ZL22rocblas_sscal_2_kernelILi256EDF16_DF16_fPDF16_EviT2_lT3_lli.numbered_sgpr, 16
	.set _ZL22rocblas_sscal_2_kernelILi256EDF16_DF16_fPDF16_EviT2_lT3_lli.num_named_barrier, 0
	.set _ZL22rocblas_sscal_2_kernelILi256EDF16_DF16_fPDF16_EviT2_lT3_lli.private_seg_size, 0
	.set _ZL22rocblas_sscal_2_kernelILi256EDF16_DF16_fPDF16_EviT2_lT3_lli.uses_vcc, 1
	.set _ZL22rocblas_sscal_2_kernelILi256EDF16_DF16_fPDF16_EviT2_lT3_lli.uses_flat_scratch, 0
	.set _ZL22rocblas_sscal_2_kernelILi256EDF16_DF16_fPDF16_EviT2_lT3_lli.has_dyn_sized_stack, 0
	.set _ZL22rocblas_sscal_2_kernelILi256EDF16_DF16_fPDF16_EviT2_lT3_lli.has_recursion, 0
	.set _ZL22rocblas_sscal_2_kernelILi256EDF16_DF16_fPDF16_EviT2_lT3_lli.has_indirect_call, 0
	.section	.AMDGPU.csdata,"",@progbits
; Kernel info:
; codeLenInByte = 412
; TotalNumSgprs: 18
; NumVgprs: 8
; ScratchSize: 0
; MemoryBound: 0
; FloatMode: 240
; IeeeMode: 1
; LDSByteSize: 0 bytes/workgroup (compile time only)
; SGPRBlocks: 0
; VGPRBlocks: 0
; NumSGPRsForWavesPerEU: 18
; NumVGPRsForWavesPerEU: 8
; NamedBarCnt: 0
; Occupancy: 16
; WaveLimiterHint : 0
; COMPUTE_PGM_RSRC2:SCRATCH_EN: 0
; COMPUTE_PGM_RSRC2:USER_SGPR: 2
; COMPUTE_PGM_RSRC2:TRAP_HANDLER: 0
; COMPUTE_PGM_RSRC2:TGID_X_EN: 1
; COMPUTE_PGM_RSRC2:TGID_Y_EN: 0
; COMPUTE_PGM_RSRC2:TGID_Z_EN: 1
; COMPUTE_PGM_RSRC2:TIDIG_COMP_CNT: 0
	.section	.text._ZL19rocblas_scal_kernelIiLi256EDF16_DF16_PKfPDF16_EviT3_lT4_lT_li,"axG",@progbits,_ZL19rocblas_scal_kernelIiLi256EDF16_DF16_PKfPDF16_EviT3_lT4_lT_li,comdat
	.globl	_ZL19rocblas_scal_kernelIiLi256EDF16_DF16_PKfPDF16_EviT3_lT4_lT_li ; -- Begin function _ZL19rocblas_scal_kernelIiLi256EDF16_DF16_PKfPDF16_EviT3_lT4_lT_li
	.p2align	8
	.type	_ZL19rocblas_scal_kernelIiLi256EDF16_DF16_PKfPDF16_EviT3_lT4_lT_li,@function
_ZL19rocblas_scal_kernelIiLi256EDF16_DF16_PKfPDF16_EviT3_lT4_lT_li: ; @_ZL19rocblas_scal_kernelIiLi256EDF16_DF16_PKfPDF16_EviT3_lT4_lT_li
; %bb.0:
	s_load_b32 s14, s[0:1], 0x38
	s_bfe_u32 s2, ttmp6, 0x40014
	s_lshr_b32 s3, ttmp7, 16
	s_add_co_i32 s2, s2, 1
	s_bfe_u32 s4, ttmp6, 0x40008
	s_mul_i32 s2, s3, s2
	s_getreg_b32 s15, hwreg(HW_REG_IB_STS2, 6, 4)
	s_add_co_i32 s4, s4, s2
	s_cmp_eq_u32 s15, 0
	s_cselect_b32 s2, s3, s4
	s_mov_b32 s3, 0
	s_wait_kmcnt 0x0
	s_cmp_ge_u32 s2, s14
	s_cbranch_scc1 .LBB10_5
; %bb.1:
	s_clause 0x1
	s_load_b32 s16, s[0:1], 0x28
	s_load_b256 s[4:11], s[0:1], 0x8
	s_bfe_u32 s12, ttmp6, 0x4000c
	s_and_b32 s17, ttmp6, 15
	s_add_co_i32 s12, s12, 1
	v_mov_b32_e32 v1, 0
	s_mul_i32 s18, ttmp9, s12
	s_load_b64 s[12:13], s[0:1], 0x30
	s_add_co_i32 s18, s17, s18
	s_wait_kmcnt 0x0
	s_ashr_i32 s17, s16, 31
	s_lshl_b64 s[10:11], s[10:11], 1
	s_cmp_eq_u32 s15, 0
	s_cselect_b32 s15, ttmp9, s18
	s_delay_alu instid0(SALU_CYCLE_1) | instskip(SKIP_3) | instid1(VALU_DEP_1)
	v_lshl_or_b32 v0, s15, 8, v0
	s_load_b32 s15, s[0:1], 0x0
	s_wait_xcnt 0x0
	s_add_nc_u64 s[0:1], s[8:9], s[10:11]
	v_mul_u64_e32 v[2:3], s[16:17], v[0:1]
	s_wait_kmcnt 0x0
	v_cmp_gt_u32_e32 vcc_lo, s15, v0
	s_delay_alu instid0(VALU_DEP_2)
	v_lshl_add_u64 v[0:1], v[2:3], 1, s[0:1]
	s_branch .LBB10_3
.LBB10_2:                               ;   in Loop: Header=BB10_3 Depth=1
	s_wait_xcnt 0x0
	s_or_b32 exec_lo, exec_lo, s1
	s_add_co_i32 s2, s2, 0x10000
	s_delay_alu instid0(SALU_CYCLE_1)
	s_cmp_lt_u32 s2, s14
	s_cbranch_scc0 .LBB10_5
.LBB10_3:                               ; =>This Inner Loop Header: Depth=1
	s_mul_u64 s[0:1], s[6:7], s[2:3]
	s_delay_alu instid0(SALU_CYCLE_1) | instskip(NEXT) | instid1(SALU_CYCLE_1)
	s_lshl_b64 s[0:1], s[0:1], 2
	s_add_nc_u64 s[0:1], s[4:5], s[0:1]
	s_load_b32 s0, s[0:1], 0x0
	s_wait_kmcnt 0x0
	s_cmp_neq_f32 s0, 1.0
	s_wait_xcnt 0x0
	s_cselect_b32 s1, -1, 0
	s_delay_alu instid0(SALU_CYCLE_1) | instskip(NEXT) | instid1(SALU_CYCLE_1)
	s_and_b32 s8, vcc_lo, s1
	s_and_saveexec_b32 s1, s8
	s_cbranch_execz .LBB10_2
; %bb.4:                                ;   in Loop: Header=BB10_3 Depth=1
	s_mul_u64 s[8:9], s[12:13], s[2:3]
	s_delay_alu instid0(SALU_CYCLE_1)
	v_lshl_add_u64 v[2:3], s[8:9], 1, v[0:1]
	global_load_u16 v4, v[2:3], off
	s_wait_loadcnt 0x0
	v_fma_mixlo_f16 v4, s0, v4, 0 op_sel_hi:[0,1,0]
	global_store_b16 v[2:3], v4, off
	s_branch .LBB10_2
.LBB10_5:
	s_endpgm
	.section	.rodata,"a",@progbits
	.p2align	6, 0x0
	.amdhsa_kernel _ZL19rocblas_scal_kernelIiLi256EDF16_DF16_PKfPDF16_EviT3_lT4_lT_li
		.amdhsa_group_segment_fixed_size 0
		.amdhsa_private_segment_fixed_size 0
		.amdhsa_kernarg_size 60
		.amdhsa_user_sgpr_count 2
		.amdhsa_user_sgpr_dispatch_ptr 0
		.amdhsa_user_sgpr_queue_ptr 0
		.amdhsa_user_sgpr_kernarg_segment_ptr 1
		.amdhsa_user_sgpr_dispatch_id 0
		.amdhsa_user_sgpr_kernarg_preload_length 0
		.amdhsa_user_sgpr_kernarg_preload_offset 0
		.amdhsa_user_sgpr_private_segment_size 0
		.amdhsa_wavefront_size32 1
		.amdhsa_uses_dynamic_stack 0
		.amdhsa_enable_private_segment 0
		.amdhsa_system_sgpr_workgroup_id_x 1
		.amdhsa_system_sgpr_workgroup_id_y 0
		.amdhsa_system_sgpr_workgroup_id_z 1
		.amdhsa_system_sgpr_workgroup_info 0
		.amdhsa_system_vgpr_workitem_id 0
		.amdhsa_next_free_vgpr 5
		.amdhsa_next_free_sgpr 19
		.amdhsa_named_barrier_count 0
		.amdhsa_reserve_vcc 1
		.amdhsa_float_round_mode_32 0
		.amdhsa_float_round_mode_16_64 0
		.amdhsa_float_denorm_mode_32 3
		.amdhsa_float_denorm_mode_16_64 3
		.amdhsa_fp16_overflow 0
		.amdhsa_memory_ordered 1
		.amdhsa_forward_progress 1
		.amdhsa_inst_pref_size 3
		.amdhsa_round_robin_scheduling 0
		.amdhsa_exception_fp_ieee_invalid_op 0
		.amdhsa_exception_fp_denorm_src 0
		.amdhsa_exception_fp_ieee_div_zero 0
		.amdhsa_exception_fp_ieee_overflow 0
		.amdhsa_exception_fp_ieee_underflow 0
		.amdhsa_exception_fp_ieee_inexact 0
		.amdhsa_exception_int_div_zero 0
	.end_amdhsa_kernel
	.section	.text._ZL19rocblas_scal_kernelIiLi256EDF16_DF16_PKfPDF16_EviT3_lT4_lT_li,"axG",@progbits,_ZL19rocblas_scal_kernelIiLi256EDF16_DF16_PKfPDF16_EviT3_lT4_lT_li,comdat
.Lfunc_end10:
	.size	_ZL19rocblas_scal_kernelIiLi256EDF16_DF16_PKfPDF16_EviT3_lT4_lT_li, .Lfunc_end10-_ZL19rocblas_scal_kernelIiLi256EDF16_DF16_PKfPDF16_EviT3_lT4_lT_li
                                        ; -- End function
	.set _ZL19rocblas_scal_kernelIiLi256EDF16_DF16_PKfPDF16_EviT3_lT4_lT_li.num_vgpr, 5
	.set _ZL19rocblas_scal_kernelIiLi256EDF16_DF16_PKfPDF16_EviT3_lT4_lT_li.num_agpr, 0
	.set _ZL19rocblas_scal_kernelIiLi256EDF16_DF16_PKfPDF16_EviT3_lT4_lT_li.numbered_sgpr, 19
	.set _ZL19rocblas_scal_kernelIiLi256EDF16_DF16_PKfPDF16_EviT3_lT4_lT_li.num_named_barrier, 0
	.set _ZL19rocblas_scal_kernelIiLi256EDF16_DF16_PKfPDF16_EviT3_lT4_lT_li.private_seg_size, 0
	.set _ZL19rocblas_scal_kernelIiLi256EDF16_DF16_PKfPDF16_EviT3_lT4_lT_li.uses_vcc, 1
	.set _ZL19rocblas_scal_kernelIiLi256EDF16_DF16_PKfPDF16_EviT3_lT4_lT_li.uses_flat_scratch, 0
	.set _ZL19rocblas_scal_kernelIiLi256EDF16_DF16_PKfPDF16_EviT3_lT4_lT_li.has_dyn_sized_stack, 0
	.set _ZL19rocblas_scal_kernelIiLi256EDF16_DF16_PKfPDF16_EviT3_lT4_lT_li.has_recursion, 0
	.set _ZL19rocblas_scal_kernelIiLi256EDF16_DF16_PKfPDF16_EviT3_lT4_lT_li.has_indirect_call, 0
	.section	.AMDGPU.csdata,"",@progbits
; Kernel info:
; codeLenInByte = 344
; TotalNumSgprs: 21
; NumVgprs: 5
; ScratchSize: 0
; MemoryBound: 0
; FloatMode: 240
; IeeeMode: 1
; LDSByteSize: 0 bytes/workgroup (compile time only)
; SGPRBlocks: 0
; VGPRBlocks: 0
; NumSGPRsForWavesPerEU: 21
; NumVGPRsForWavesPerEU: 5
; NamedBarCnt: 0
; Occupancy: 16
; WaveLimiterHint : 0
; COMPUTE_PGM_RSRC2:SCRATCH_EN: 0
; COMPUTE_PGM_RSRC2:USER_SGPR: 2
; COMPUTE_PGM_RSRC2:TRAP_HANDLER: 0
; COMPUTE_PGM_RSRC2:TGID_X_EN: 1
; COMPUTE_PGM_RSRC2:TGID_Y_EN: 0
; COMPUTE_PGM_RSRC2:TGID_Z_EN: 1
; COMPUTE_PGM_RSRC2:TIDIG_COMP_CNT: 0
	.section	.text._ZL19rocblas_scal_kernelIiLi256EDF16_DF16_fPDF16_EviT3_lT4_lT_li,"axG",@progbits,_ZL19rocblas_scal_kernelIiLi256EDF16_DF16_fPDF16_EviT3_lT4_lT_li,comdat
	.globl	_ZL19rocblas_scal_kernelIiLi256EDF16_DF16_fPDF16_EviT3_lT4_lT_li ; -- Begin function _ZL19rocblas_scal_kernelIiLi256EDF16_DF16_fPDF16_EviT3_lT4_lT_li
	.p2align	8
	.type	_ZL19rocblas_scal_kernelIiLi256EDF16_DF16_fPDF16_EviT3_lT4_lT_li,@function
_ZL19rocblas_scal_kernelIiLi256EDF16_DF16_fPDF16_EviT3_lT4_lT_li: ; @_ZL19rocblas_scal_kernelIiLi256EDF16_DF16_fPDF16_EviT3_lT4_lT_li
; %bb.0:
	s_load_b32 s6, s[0:1], 0x30
	s_bfe_u32 s2, ttmp6, 0x40014
	s_lshr_b32 s3, ttmp7, 16
	s_add_co_i32 s2, s2, 1
	s_bfe_u32 s4, ttmp6, 0x40008
	s_mul_i32 s2, s3, s2
	s_getreg_b32 s7, hwreg(HW_REG_IB_STS2, 6, 4)
	s_add_co_i32 s4, s4, s2
	s_cmp_eq_u32 s7, 0
	s_cselect_b32 s2, s3, s4
	s_mov_b32 s3, 0
	s_wait_kmcnt 0x0
	s_cmp_ge_u32 s2, s6
	s_cbranch_scc1 .LBB11_5
; %bb.1:
	s_clause 0x1
	s_load_b32 s12, s[0:1], 0x20
	s_load_b128 s[8:11], s[0:1], 0x10
	s_bfe_u32 s4, ttmp6, 0x4000c
	s_and_b32 s13, ttmp6, 15
	s_add_co_i32 s4, s4, 1
	v_mov_b32_e32 v1, 0
	s_mul_i32 s14, ttmp9, s4
	s_load_b64 s[4:5], s[0:1], 0x28
	s_add_co_i32 s14, s13, s14
	s_wait_xcnt 0x0
	s_load_b64 s[0:1], s[0:1], 0x0
	s_wait_kmcnt 0x0
	s_ashr_i32 s13, s12, 31
	s_lshl_b64 s[10:11], s[10:11], 1
	s_cmp_eq_u32 s7, 0
	s_add_nc_u64 s[8:9], s[8:9], s[10:11]
	s_cselect_b32 s7, ttmp9, s14
	s_delay_alu instid0(SALU_CYCLE_1) | instskip(SKIP_1) | instid1(VALU_DEP_1)
	v_lshl_or_b32 v0, s7, 8, v0
	s_cmp_neq_f32 s1, 1.0
	v_mul_u64_e32 v[2:3], s[12:13], v[0:1]
	v_cmp_gt_u32_e32 vcc_lo, s0, v0
	s_cselect_b32 s0, -1, 0
	s_delay_alu instid0(SALU_CYCLE_1) | instskip(NEXT) | instid1(VALU_DEP_2)
	s_and_b32 s0, vcc_lo, s0
	v_lshl_add_u64 v[0:1], v[2:3], 1, s[8:9]
	s_branch .LBB11_3
.LBB11_2:                               ;   in Loop: Header=BB11_3 Depth=1
	s_wait_xcnt 0x0
	s_or_b32 exec_lo, exec_lo, s7
	s_add_co_i32 s2, s2, 0x10000
	s_delay_alu instid0(SALU_CYCLE_1)
	s_cmp_lt_u32 s2, s6
	s_cbranch_scc0 .LBB11_5
.LBB11_3:                               ; =>This Inner Loop Header: Depth=1
	s_and_saveexec_b32 s7, s0
	s_cbranch_execz .LBB11_2
; %bb.4:                                ;   in Loop: Header=BB11_3 Depth=1
	s_mul_u64 s[8:9], s[4:5], s[2:3]
	s_delay_alu instid0(SALU_CYCLE_1)
	v_lshl_add_u64 v[2:3], s[8:9], 1, v[0:1]
	global_load_u16 v4, v[2:3], off
	s_wait_loadcnt 0x0
	v_fma_mixlo_f16 v4, s1, v4, 0 op_sel_hi:[0,1,0]
	global_store_b16 v[2:3], v4, off
	s_branch .LBB11_2
.LBB11_5:
	s_endpgm
	.section	.rodata,"a",@progbits
	.p2align	6, 0x0
	.amdhsa_kernel _ZL19rocblas_scal_kernelIiLi256EDF16_DF16_fPDF16_EviT3_lT4_lT_li
		.amdhsa_group_segment_fixed_size 0
		.amdhsa_private_segment_fixed_size 0
		.amdhsa_kernarg_size 52
		.amdhsa_user_sgpr_count 2
		.amdhsa_user_sgpr_dispatch_ptr 0
		.amdhsa_user_sgpr_queue_ptr 0
		.amdhsa_user_sgpr_kernarg_segment_ptr 1
		.amdhsa_user_sgpr_dispatch_id 0
		.amdhsa_user_sgpr_kernarg_preload_length 0
		.amdhsa_user_sgpr_kernarg_preload_offset 0
		.amdhsa_user_sgpr_private_segment_size 0
		.amdhsa_wavefront_size32 1
		.amdhsa_uses_dynamic_stack 0
		.amdhsa_enable_private_segment 0
		.amdhsa_system_sgpr_workgroup_id_x 1
		.amdhsa_system_sgpr_workgroup_id_y 0
		.amdhsa_system_sgpr_workgroup_id_z 1
		.amdhsa_system_sgpr_workgroup_info 0
		.amdhsa_system_vgpr_workitem_id 0
		.amdhsa_next_free_vgpr 5
		.amdhsa_next_free_sgpr 15
		.amdhsa_named_barrier_count 0
		.amdhsa_reserve_vcc 1
		.amdhsa_float_round_mode_32 0
		.amdhsa_float_round_mode_16_64 0
		.amdhsa_float_denorm_mode_32 3
		.amdhsa_float_denorm_mode_16_64 3
		.amdhsa_fp16_overflow 0
		.amdhsa_memory_ordered 1
		.amdhsa_forward_progress 1
		.amdhsa_inst_pref_size 3
		.amdhsa_round_robin_scheduling 0
		.amdhsa_exception_fp_ieee_invalid_op 0
		.amdhsa_exception_fp_denorm_src 0
		.amdhsa_exception_fp_ieee_div_zero 0
		.amdhsa_exception_fp_ieee_overflow 0
		.amdhsa_exception_fp_ieee_underflow 0
		.amdhsa_exception_fp_ieee_inexact 0
		.amdhsa_exception_int_div_zero 0
	.end_amdhsa_kernel
	.section	.text._ZL19rocblas_scal_kernelIiLi256EDF16_DF16_fPDF16_EviT3_lT4_lT_li,"axG",@progbits,_ZL19rocblas_scal_kernelIiLi256EDF16_DF16_fPDF16_EviT3_lT4_lT_li,comdat
.Lfunc_end11:
	.size	_ZL19rocblas_scal_kernelIiLi256EDF16_DF16_fPDF16_EviT3_lT4_lT_li, .Lfunc_end11-_ZL19rocblas_scal_kernelIiLi256EDF16_DF16_fPDF16_EviT3_lT4_lT_li
                                        ; -- End function
	.set _ZL19rocblas_scal_kernelIiLi256EDF16_DF16_fPDF16_EviT3_lT4_lT_li.num_vgpr, 5
	.set _ZL19rocblas_scal_kernelIiLi256EDF16_DF16_fPDF16_EviT3_lT4_lT_li.num_agpr, 0
	.set _ZL19rocblas_scal_kernelIiLi256EDF16_DF16_fPDF16_EviT3_lT4_lT_li.numbered_sgpr, 15
	.set _ZL19rocblas_scal_kernelIiLi256EDF16_DF16_fPDF16_EviT3_lT4_lT_li.num_named_barrier, 0
	.set _ZL19rocblas_scal_kernelIiLi256EDF16_DF16_fPDF16_EviT3_lT4_lT_li.private_seg_size, 0
	.set _ZL19rocblas_scal_kernelIiLi256EDF16_DF16_fPDF16_EviT3_lT4_lT_li.uses_vcc, 1
	.set _ZL19rocblas_scal_kernelIiLi256EDF16_DF16_fPDF16_EviT3_lT4_lT_li.uses_flat_scratch, 0
	.set _ZL19rocblas_scal_kernelIiLi256EDF16_DF16_fPDF16_EviT3_lT4_lT_li.has_dyn_sized_stack, 0
	.set _ZL19rocblas_scal_kernelIiLi256EDF16_DF16_fPDF16_EviT3_lT4_lT_li.has_recursion, 0
	.set _ZL19rocblas_scal_kernelIiLi256EDF16_DF16_fPDF16_EviT3_lT4_lT_li.has_indirect_call, 0
	.section	.AMDGPU.csdata,"",@progbits
; Kernel info:
; codeLenInByte = 304
; TotalNumSgprs: 17
; NumVgprs: 5
; ScratchSize: 0
; MemoryBound: 0
; FloatMode: 240
; IeeeMode: 1
; LDSByteSize: 0 bytes/workgroup (compile time only)
; SGPRBlocks: 0
; VGPRBlocks: 0
; NumSGPRsForWavesPerEU: 17
; NumVGPRsForWavesPerEU: 5
; NamedBarCnt: 0
; Occupancy: 16
; WaveLimiterHint : 0
; COMPUTE_PGM_RSRC2:SCRATCH_EN: 0
; COMPUTE_PGM_RSRC2:USER_SGPR: 2
; COMPUTE_PGM_RSRC2:TRAP_HANDLER: 0
; COMPUTE_PGM_RSRC2:TGID_X_EN: 1
; COMPUTE_PGM_RSRC2:TGID_Y_EN: 0
; COMPUTE_PGM_RSRC2:TGID_Z_EN: 1
; COMPUTE_PGM_RSRC2:TIDIG_COMP_CNT: 0
	.section	.text._ZL19rocblas_scal_kernelIlLi256EDF16_DF16_PKfPDF16_EviT3_lT4_lT_li,"axG",@progbits,_ZL19rocblas_scal_kernelIlLi256EDF16_DF16_PKfPDF16_EviT3_lT4_lT_li,comdat
	.globl	_ZL19rocblas_scal_kernelIlLi256EDF16_DF16_PKfPDF16_EviT3_lT4_lT_li ; -- Begin function _ZL19rocblas_scal_kernelIlLi256EDF16_DF16_PKfPDF16_EviT3_lT4_lT_li
	.p2align	8
	.type	_ZL19rocblas_scal_kernelIlLi256EDF16_DF16_PKfPDF16_EviT3_lT4_lT_li,@function
_ZL19rocblas_scal_kernelIlLi256EDF16_DF16_PKfPDF16_EviT3_lT4_lT_li: ; @_ZL19rocblas_scal_kernelIlLi256EDF16_DF16_PKfPDF16_EviT3_lT4_lT_li
; %bb.0:
	s_load_b32 s16, s[0:1], 0x38
	s_bfe_u32 s2, ttmp6, 0x40014
	s_lshr_b32 s3, ttmp7, 16
	s_add_co_i32 s2, s2, 1
	s_bfe_u32 s4, ttmp6, 0x40008
	s_mul_i32 s2, s3, s2
	s_getreg_b32 s17, hwreg(HW_REG_IB_STS2, 6, 4)
	s_add_co_i32 s4, s4, s2
	s_cmp_eq_u32 s17, 0
	s_cselect_b32 s2, s3, s4
	s_mov_b32 s3, 0
	s_wait_kmcnt 0x0
	s_cmp_ge_u32 s2, s16
	s_cbranch_scc1 .LBB12_5
; %bb.1:
	s_clause 0x1
	s_load_b256 s[4:11], s[0:1], 0x8
	s_load_b128 s[12:15], s[0:1], 0x28
	s_bfe_u32 s18, ttmp6, 0x4000c
	s_and_b32 s19, ttmp6, 15
	s_add_co_i32 s18, s18, 1
	v_mov_b32_e32 v1, 0
	s_mul_i32 s18, ttmp9, s18
	s_delay_alu instid0(SALU_CYCLE_1) | instskip(SKIP_4) | instid1(SALU_CYCLE_1)
	s_add_co_i32 s19, s19, s18
	s_wait_kmcnt 0x0
	s_lshl_b64 s[10:11], s[10:11], 1
	s_cmp_eq_u32 s17, 0
	s_cselect_b32 s17, ttmp9, s19
	v_lshl_or_b32 v0, s17, 8, v0
	s_delay_alu instid0(VALU_DEP_1)
	v_mul_u64_e32 v[2:3], s[12:13], v[0:1]
	s_load_b32 s12, s[0:1], 0x0
	s_wait_xcnt 0x0
	s_add_nc_u64 s[0:1], s[8:9], s[10:11]
	s_wait_kmcnt 0x0
	v_cmp_gt_u32_e32 vcc_lo, s12, v0
	s_delay_alu instid0(VALU_DEP_2)
	v_lshl_add_u64 v[0:1], v[2:3], 1, s[0:1]
	s_branch .LBB12_3
.LBB12_2:                               ;   in Loop: Header=BB12_3 Depth=1
	s_wait_xcnt 0x0
	s_or_b32 exec_lo, exec_lo, s1
	s_add_co_i32 s2, s2, 0x10000
	s_delay_alu instid0(SALU_CYCLE_1)
	s_cmp_lt_u32 s2, s16
	s_cbranch_scc0 .LBB12_5
.LBB12_3:                               ; =>This Inner Loop Header: Depth=1
	s_mul_u64 s[0:1], s[6:7], s[2:3]
	s_delay_alu instid0(SALU_CYCLE_1) | instskip(NEXT) | instid1(SALU_CYCLE_1)
	s_lshl_b64 s[0:1], s[0:1], 2
	s_add_nc_u64 s[0:1], s[4:5], s[0:1]
	s_load_b32 s0, s[0:1], 0x0
	s_wait_kmcnt 0x0
	s_cmp_neq_f32 s0, 1.0
	s_wait_xcnt 0x0
	s_cselect_b32 s1, -1, 0
	s_delay_alu instid0(SALU_CYCLE_1) | instskip(NEXT) | instid1(SALU_CYCLE_1)
	s_and_b32 s8, vcc_lo, s1
	s_and_saveexec_b32 s1, s8
	s_cbranch_execz .LBB12_2
; %bb.4:                                ;   in Loop: Header=BB12_3 Depth=1
	s_mul_u64 s[8:9], s[14:15], s[2:3]
	s_delay_alu instid0(SALU_CYCLE_1)
	v_lshl_add_u64 v[2:3], s[8:9], 1, v[0:1]
	global_load_u16 v4, v[2:3], off
	s_wait_loadcnt 0x0
	v_fma_mixlo_f16 v4, s0, v4, 0 op_sel_hi:[0,1,0]
	global_store_b16 v[2:3], v4, off
	s_branch .LBB12_2
.LBB12_5:
	s_endpgm
	.section	.rodata,"a",@progbits
	.p2align	6, 0x0
	.amdhsa_kernel _ZL19rocblas_scal_kernelIlLi256EDF16_DF16_PKfPDF16_EviT3_lT4_lT_li
		.amdhsa_group_segment_fixed_size 0
		.amdhsa_private_segment_fixed_size 0
		.amdhsa_kernarg_size 60
		.amdhsa_user_sgpr_count 2
		.amdhsa_user_sgpr_dispatch_ptr 0
		.amdhsa_user_sgpr_queue_ptr 0
		.amdhsa_user_sgpr_kernarg_segment_ptr 1
		.amdhsa_user_sgpr_dispatch_id 0
		.amdhsa_user_sgpr_kernarg_preload_length 0
		.amdhsa_user_sgpr_kernarg_preload_offset 0
		.amdhsa_user_sgpr_private_segment_size 0
		.amdhsa_wavefront_size32 1
		.amdhsa_uses_dynamic_stack 0
		.amdhsa_enable_private_segment 0
		.amdhsa_system_sgpr_workgroup_id_x 1
		.amdhsa_system_sgpr_workgroup_id_y 0
		.amdhsa_system_sgpr_workgroup_id_z 1
		.amdhsa_system_sgpr_workgroup_info 0
		.amdhsa_system_vgpr_workitem_id 0
		.amdhsa_next_free_vgpr 5
		.amdhsa_next_free_sgpr 20
		.amdhsa_named_barrier_count 0
		.amdhsa_reserve_vcc 1
		.amdhsa_float_round_mode_32 0
		.amdhsa_float_round_mode_16_64 0
		.amdhsa_float_denorm_mode_32 3
		.amdhsa_float_denorm_mode_16_64 3
		.amdhsa_fp16_overflow 0
		.amdhsa_memory_ordered 1
		.amdhsa_forward_progress 1
		.amdhsa_inst_pref_size 3
		.amdhsa_round_robin_scheduling 0
		.amdhsa_exception_fp_ieee_invalid_op 0
		.amdhsa_exception_fp_denorm_src 0
		.amdhsa_exception_fp_ieee_div_zero 0
		.amdhsa_exception_fp_ieee_overflow 0
		.amdhsa_exception_fp_ieee_underflow 0
		.amdhsa_exception_fp_ieee_inexact 0
		.amdhsa_exception_int_div_zero 0
	.end_amdhsa_kernel
	.section	.text._ZL19rocblas_scal_kernelIlLi256EDF16_DF16_PKfPDF16_EviT3_lT4_lT_li,"axG",@progbits,_ZL19rocblas_scal_kernelIlLi256EDF16_DF16_PKfPDF16_EviT3_lT4_lT_li,comdat
.Lfunc_end12:
	.size	_ZL19rocblas_scal_kernelIlLi256EDF16_DF16_PKfPDF16_EviT3_lT4_lT_li, .Lfunc_end12-_ZL19rocblas_scal_kernelIlLi256EDF16_DF16_PKfPDF16_EviT3_lT4_lT_li
                                        ; -- End function
	.set _ZL19rocblas_scal_kernelIlLi256EDF16_DF16_PKfPDF16_EviT3_lT4_lT_li.num_vgpr, 5
	.set _ZL19rocblas_scal_kernelIlLi256EDF16_DF16_PKfPDF16_EviT3_lT4_lT_li.num_agpr, 0
	.set _ZL19rocblas_scal_kernelIlLi256EDF16_DF16_PKfPDF16_EviT3_lT4_lT_li.numbered_sgpr, 20
	.set _ZL19rocblas_scal_kernelIlLi256EDF16_DF16_PKfPDF16_EviT3_lT4_lT_li.num_named_barrier, 0
	.set _ZL19rocblas_scal_kernelIlLi256EDF16_DF16_PKfPDF16_EviT3_lT4_lT_li.private_seg_size, 0
	.set _ZL19rocblas_scal_kernelIlLi256EDF16_DF16_PKfPDF16_EviT3_lT4_lT_li.uses_vcc, 1
	.set _ZL19rocblas_scal_kernelIlLi256EDF16_DF16_PKfPDF16_EviT3_lT4_lT_li.uses_flat_scratch, 0
	.set _ZL19rocblas_scal_kernelIlLi256EDF16_DF16_PKfPDF16_EviT3_lT4_lT_li.has_dyn_sized_stack, 0
	.set _ZL19rocblas_scal_kernelIlLi256EDF16_DF16_PKfPDF16_EviT3_lT4_lT_li.has_recursion, 0
	.set _ZL19rocblas_scal_kernelIlLi256EDF16_DF16_PKfPDF16_EviT3_lT4_lT_li.has_indirect_call, 0
	.section	.AMDGPU.csdata,"",@progbits
; Kernel info:
; codeLenInByte = 336
; TotalNumSgprs: 22
; NumVgprs: 5
; ScratchSize: 0
; MemoryBound: 0
; FloatMode: 240
; IeeeMode: 1
; LDSByteSize: 0 bytes/workgroup (compile time only)
; SGPRBlocks: 0
; VGPRBlocks: 0
; NumSGPRsForWavesPerEU: 22
; NumVGPRsForWavesPerEU: 5
; NamedBarCnt: 0
; Occupancy: 16
; WaveLimiterHint : 0
; COMPUTE_PGM_RSRC2:SCRATCH_EN: 0
; COMPUTE_PGM_RSRC2:USER_SGPR: 2
; COMPUTE_PGM_RSRC2:TRAP_HANDLER: 0
; COMPUTE_PGM_RSRC2:TGID_X_EN: 1
; COMPUTE_PGM_RSRC2:TGID_Y_EN: 0
; COMPUTE_PGM_RSRC2:TGID_Z_EN: 1
; COMPUTE_PGM_RSRC2:TIDIG_COMP_CNT: 0
	.section	.text._ZL19rocblas_scal_kernelIlLi256EDF16_DF16_fPDF16_EviT3_lT4_lT_li,"axG",@progbits,_ZL19rocblas_scal_kernelIlLi256EDF16_DF16_fPDF16_EviT3_lT4_lT_li,comdat
	.globl	_ZL19rocblas_scal_kernelIlLi256EDF16_DF16_fPDF16_EviT3_lT4_lT_li ; -- Begin function _ZL19rocblas_scal_kernelIlLi256EDF16_DF16_fPDF16_EviT3_lT4_lT_li
	.p2align	8
	.type	_ZL19rocblas_scal_kernelIlLi256EDF16_DF16_fPDF16_EviT3_lT4_lT_li,@function
_ZL19rocblas_scal_kernelIlLi256EDF16_DF16_fPDF16_EviT3_lT4_lT_li: ; @_ZL19rocblas_scal_kernelIlLi256EDF16_DF16_fPDF16_EviT3_lT4_lT_li
; %bb.0:
	s_load_b32 s12, s[0:1], 0x30
	s_bfe_u32 s2, ttmp6, 0x40014
	s_lshr_b32 s3, ttmp7, 16
	s_add_co_i32 s2, s2, 1
	s_bfe_u32 s4, ttmp6, 0x40008
	s_mul_i32 s2, s3, s2
	s_getreg_b32 s13, hwreg(HW_REG_IB_STS2, 6, 4)
	s_add_co_i32 s4, s4, s2
	s_cmp_eq_u32 s13, 0
	s_cselect_b32 s2, s3, s4
	s_mov_b32 s3, 0
	s_wait_kmcnt 0x0
	s_cmp_ge_u32 s2, s12
	s_cbranch_scc1 .LBB13_5
; %bb.1:
	s_load_b256 s[4:11], s[0:1], 0x10
	s_bfe_u32 s14, ttmp6, 0x4000c
	s_and_b32 s15, ttmp6, 15
	s_add_co_i32 s14, s14, 1
	v_mov_b32_e32 v1, 0
	s_mul_i32 s14, ttmp9, s14
	s_wait_xcnt 0x0
	s_load_b64 s[0:1], s[0:1], 0x0
	s_add_co_i32 s15, s15, s14
	s_wait_kmcnt 0x0
	s_lshl_b64 s[6:7], s[6:7], 1
	s_cmp_eq_u32 s13, 0
	s_add_nc_u64 s[4:5], s[4:5], s[6:7]
	s_cselect_b32 s13, ttmp9, s15
	s_delay_alu instid0(SALU_CYCLE_1) | instskip(SKIP_1) | instid1(VALU_DEP_1)
	v_lshl_or_b32 v0, s13, 8, v0
	s_cmp_neq_f32 s1, 1.0
	v_mul_u64_e32 v[2:3], s[8:9], v[0:1]
	v_cmp_gt_u32_e32 vcc_lo, s0, v0
	s_cselect_b32 s0, -1, 0
	s_delay_alu instid0(SALU_CYCLE_1) | instskip(NEXT) | instid1(VALU_DEP_2)
	s_and_b32 s0, vcc_lo, s0
	v_lshl_add_u64 v[0:1], v[2:3], 1, s[4:5]
	s_branch .LBB13_3
.LBB13_2:                               ;   in Loop: Header=BB13_3 Depth=1
	s_wait_xcnt 0x0
	s_or_b32 exec_lo, exec_lo, s4
	s_add_co_i32 s2, s2, 0x10000
	s_delay_alu instid0(SALU_CYCLE_1)
	s_cmp_lt_u32 s2, s12
	s_cbranch_scc0 .LBB13_5
.LBB13_3:                               ; =>This Inner Loop Header: Depth=1
	s_and_saveexec_b32 s4, s0
	s_cbranch_execz .LBB13_2
; %bb.4:                                ;   in Loop: Header=BB13_3 Depth=1
	s_mul_u64 s[6:7], s[10:11], s[2:3]
	s_delay_alu instid0(SALU_CYCLE_1)
	v_lshl_add_u64 v[2:3], s[6:7], 1, v[0:1]
	global_load_u16 v4, v[2:3], off
	s_wait_loadcnt 0x0
	v_fma_mixlo_f16 v4, s1, v4, 0 op_sel_hi:[0,1,0]
	global_store_b16 v[2:3], v4, off
	s_branch .LBB13_2
.LBB13_5:
	s_endpgm
	.section	.rodata,"a",@progbits
	.p2align	6, 0x0
	.amdhsa_kernel _ZL19rocblas_scal_kernelIlLi256EDF16_DF16_fPDF16_EviT3_lT4_lT_li
		.amdhsa_group_segment_fixed_size 0
		.amdhsa_private_segment_fixed_size 0
		.amdhsa_kernarg_size 52
		.amdhsa_user_sgpr_count 2
		.amdhsa_user_sgpr_dispatch_ptr 0
		.amdhsa_user_sgpr_queue_ptr 0
		.amdhsa_user_sgpr_kernarg_segment_ptr 1
		.amdhsa_user_sgpr_dispatch_id 0
		.amdhsa_user_sgpr_kernarg_preload_length 0
		.amdhsa_user_sgpr_kernarg_preload_offset 0
		.amdhsa_user_sgpr_private_segment_size 0
		.amdhsa_wavefront_size32 1
		.amdhsa_uses_dynamic_stack 0
		.amdhsa_enable_private_segment 0
		.amdhsa_system_sgpr_workgroup_id_x 1
		.amdhsa_system_sgpr_workgroup_id_y 0
		.amdhsa_system_sgpr_workgroup_id_z 1
		.amdhsa_system_sgpr_workgroup_info 0
		.amdhsa_system_vgpr_workitem_id 0
		.amdhsa_next_free_vgpr 5
		.amdhsa_next_free_sgpr 16
		.amdhsa_named_barrier_count 0
		.amdhsa_reserve_vcc 1
		.amdhsa_float_round_mode_32 0
		.amdhsa_float_round_mode_16_64 0
		.amdhsa_float_denorm_mode_32 3
		.amdhsa_float_denorm_mode_16_64 3
		.amdhsa_fp16_overflow 0
		.amdhsa_memory_ordered 1
		.amdhsa_forward_progress 1
		.amdhsa_inst_pref_size 3
		.amdhsa_round_robin_scheduling 0
		.amdhsa_exception_fp_ieee_invalid_op 0
		.amdhsa_exception_fp_denorm_src 0
		.amdhsa_exception_fp_ieee_div_zero 0
		.amdhsa_exception_fp_ieee_overflow 0
		.amdhsa_exception_fp_ieee_underflow 0
		.amdhsa_exception_fp_ieee_inexact 0
		.amdhsa_exception_int_div_zero 0
	.end_amdhsa_kernel
	.section	.text._ZL19rocblas_scal_kernelIlLi256EDF16_DF16_fPDF16_EviT3_lT4_lT_li,"axG",@progbits,_ZL19rocblas_scal_kernelIlLi256EDF16_DF16_fPDF16_EviT3_lT4_lT_li,comdat
.Lfunc_end13:
	.size	_ZL19rocblas_scal_kernelIlLi256EDF16_DF16_fPDF16_EviT3_lT4_lT_li, .Lfunc_end13-_ZL19rocblas_scal_kernelIlLi256EDF16_DF16_fPDF16_EviT3_lT4_lT_li
                                        ; -- End function
	.set _ZL19rocblas_scal_kernelIlLi256EDF16_DF16_fPDF16_EviT3_lT4_lT_li.num_vgpr, 5
	.set _ZL19rocblas_scal_kernelIlLi256EDF16_DF16_fPDF16_EviT3_lT4_lT_li.num_agpr, 0
	.set _ZL19rocblas_scal_kernelIlLi256EDF16_DF16_fPDF16_EviT3_lT4_lT_li.numbered_sgpr, 16
	.set _ZL19rocblas_scal_kernelIlLi256EDF16_DF16_fPDF16_EviT3_lT4_lT_li.num_named_barrier, 0
	.set _ZL19rocblas_scal_kernelIlLi256EDF16_DF16_fPDF16_EviT3_lT4_lT_li.private_seg_size, 0
	.set _ZL19rocblas_scal_kernelIlLi256EDF16_DF16_fPDF16_EviT3_lT4_lT_li.uses_vcc, 1
	.set _ZL19rocblas_scal_kernelIlLi256EDF16_DF16_fPDF16_EviT3_lT4_lT_li.uses_flat_scratch, 0
	.set _ZL19rocblas_scal_kernelIlLi256EDF16_DF16_fPDF16_EviT3_lT4_lT_li.has_dyn_sized_stack, 0
	.set _ZL19rocblas_scal_kernelIlLi256EDF16_DF16_fPDF16_EviT3_lT4_lT_li.has_recursion, 0
	.set _ZL19rocblas_scal_kernelIlLi256EDF16_DF16_fPDF16_EviT3_lT4_lT_li.has_indirect_call, 0
	.section	.AMDGPU.csdata,"",@progbits
; Kernel info:
; codeLenInByte = 280
; TotalNumSgprs: 18
; NumVgprs: 5
; ScratchSize: 0
; MemoryBound: 0
; FloatMode: 240
; IeeeMode: 1
; LDSByteSize: 0 bytes/workgroup (compile time only)
; SGPRBlocks: 0
; VGPRBlocks: 0
; NumSGPRsForWavesPerEU: 18
; NumVGPRsForWavesPerEU: 5
; NamedBarCnt: 0
; Occupancy: 16
; WaveLimiterHint : 0
; COMPUTE_PGM_RSRC2:SCRATCH_EN: 0
; COMPUTE_PGM_RSRC2:USER_SGPR: 2
; COMPUTE_PGM_RSRC2:TRAP_HANDLER: 0
; COMPUTE_PGM_RSRC2:TGID_X_EN: 1
; COMPUTE_PGM_RSRC2:TGID_Y_EN: 0
; COMPUTE_PGM_RSRC2:TGID_Z_EN: 1
; COMPUTE_PGM_RSRC2:TIDIG_COMP_CNT: 0
	.section	.text._ZL22rocblas_sscal_2_kernelILi256EffPKfPfEviT2_lT3_lli,"axG",@progbits,_ZL22rocblas_sscal_2_kernelILi256EffPKfPfEviT2_lT3_lli,comdat
	.globl	_ZL22rocblas_sscal_2_kernelILi256EffPKfPfEviT2_lT3_lli ; -- Begin function _ZL22rocblas_sscal_2_kernelILi256EffPKfPfEviT2_lT3_lli
	.p2align	8
	.type	_ZL22rocblas_sscal_2_kernelILi256EffPKfPfEviT2_lT3_lli,@function
_ZL22rocblas_sscal_2_kernelILi256EffPKfPfEviT2_lT3_lli: ; @_ZL22rocblas_sscal_2_kernelILi256EffPKfPfEviT2_lT3_lli
; %bb.0:
	s_load_b32 s12, s[0:1], 0x30
	s_bfe_u32 s2, ttmp6, 0x40014
	s_lshr_b32 s3, ttmp7, 16
	s_add_co_i32 s2, s2, 1
	s_bfe_u32 s4, ttmp6, 0x40008
	s_mul_i32 s2, s3, s2
	s_getreg_b32 s13, hwreg(HW_REG_IB_STS2, 6, 4)
	s_add_co_i32 s4, s4, s2
	s_cmp_eq_u32 s13, 0
	s_cselect_b32 s2, s3, s4
	s_mov_b32 s3, 0
	s_wait_kmcnt 0x0
	s_cmp_ge_u32 s2, s12
	s_cbranch_scc1 .LBB14_9
; %bb.1:
	s_clause 0x2
	s_load_b128 s[4:7], s[0:1], 0x20
	s_load_b32 s16, s[0:1], 0x0
	s_load_b64 s[14:15], s[0:1], 0x18
	s_bfe_u32 s17, ttmp6, 0x4000c
	s_load_b128 s[8:11], s[0:1], 0x8
	s_add_co_i32 s17, s17, 1
	s_wait_xcnt 0x0
	s_and_b32 s0, ttmp6, 15
	s_mul_i32 s1, ttmp9, s17
	v_lshlrev_b32_e32 v0, 1, v0
	s_add_co_i32 s0, s0, s1
	s_wait_kmcnt 0x0
	s_lshl_b64 s[4:5], s[4:5], 2
	s_cmp_eq_u32 s13, 0
	s_add_nc_u64 s[4:5], s[14:15], s[4:5]
	s_cselect_b32 s0, ttmp9, s0
	s_bitcmp1_b32 s16, 0
	v_lshl_or_b32 v0, s0, 9, v0
	s_cselect_b32 s1, -1, 0
	s_add_co_i32 s0, s16, -1
	s_delay_alu instid0(VALU_DEP_1) | instskip(SKIP_1) | instid1(VALU_DEP_2)
	v_or_b32_e32 v1, 1, v0
	v_cmp_eq_u32_e64 s0, s0, v0
	v_cmp_gt_u32_e32 vcc_lo, s16, v1
	v_mov_b32_e32 v1, 0
	s_and_b32 s1, s1, s0
	s_branch .LBB14_4
.LBB14_2:                               ;   in Loop: Header=BB14_4 Depth=1
	s_wait_xcnt 0x0
	s_or_b32 exec_lo, exec_lo, s13
.LBB14_3:                               ;   in Loop: Header=BB14_4 Depth=1
	s_add_co_i32 s2, s2, 0x10000
	s_delay_alu instid0(SALU_CYCLE_1)
	s_cmp_lt_u32 s2, s12
	s_cbranch_scc0 .LBB14_9
.LBB14_4:                               ; =>This Inner Loop Header: Depth=1
	s_wait_xcnt 0x0
	s_mul_u64 s[14:15], s[10:11], s[2:3]
	s_delay_alu instid0(SALU_CYCLE_1) | instskip(NEXT) | instid1(SALU_CYCLE_1)
	s_lshl_b64 s[14:15], s[14:15], 2
	s_add_nc_u64 s[14:15], s[8:9], s[14:15]
	s_load_b32 s0, s[14:15], 0x0
	s_wait_kmcnt 0x0
	s_cmp_eq_f32 s0, 1.0
	s_cbranch_scc1 .LBB14_3
; %bb.5:                                ;   in Loop: Header=BB14_4 Depth=1
	s_wait_xcnt 0x0
	s_mul_u64 s[14:15], s[6:7], s[2:3]
	s_delay_alu instid0(SALU_CYCLE_1) | instskip(NEXT) | instid1(SALU_CYCLE_1)
	s_lshl_b64 s[14:15], s[14:15], 2
	s_add_nc_u64 s[14:15], s[4:5], s[14:15]
	s_delay_alu instid0(SALU_CYCLE_1)
	v_lshl_add_u64 v[2:3], v[0:1], 2, s[14:15]
	s_and_saveexec_b32 s13, vcc_lo
	s_cbranch_execz .LBB14_7
; %bb.6:                                ;   in Loop: Header=BB14_4 Depth=1
	global_load_b64 v[4:5], v[2:3], off
	s_wait_loadcnt 0x0
	v_pk_mul_f32 v[4:5], s[0:1], v[4:5] op_sel_hi:[0,1]
	global_store_b64 v[2:3], v[4:5], off
.LBB14_7:                               ;   in Loop: Header=BB14_4 Depth=1
	s_wait_xcnt 0x0
	s_or_b32 exec_lo, exec_lo, s13
	s_and_saveexec_b32 s13, s1
	s_cbranch_execz .LBB14_2
; %bb.8:                                ;   in Loop: Header=BB14_4 Depth=1
	global_load_b32 v4, v[2:3], off
	s_wait_loadcnt 0x0
	v_mul_f32_e32 v4, s0, v4
	global_store_b32 v[2:3], v4, off
	s_branch .LBB14_2
.LBB14_9:
	s_endpgm
	.section	.rodata,"a",@progbits
	.p2align	6, 0x0
	.amdhsa_kernel _ZL22rocblas_sscal_2_kernelILi256EffPKfPfEviT2_lT3_lli
		.amdhsa_group_segment_fixed_size 0
		.amdhsa_private_segment_fixed_size 0
		.amdhsa_kernarg_size 52
		.amdhsa_user_sgpr_count 2
		.amdhsa_user_sgpr_dispatch_ptr 0
		.amdhsa_user_sgpr_queue_ptr 0
		.amdhsa_user_sgpr_kernarg_segment_ptr 1
		.amdhsa_user_sgpr_dispatch_id 0
		.amdhsa_user_sgpr_kernarg_preload_length 0
		.amdhsa_user_sgpr_kernarg_preload_offset 0
		.amdhsa_user_sgpr_private_segment_size 0
		.amdhsa_wavefront_size32 1
		.amdhsa_uses_dynamic_stack 0
		.amdhsa_enable_private_segment 0
		.amdhsa_system_sgpr_workgroup_id_x 1
		.amdhsa_system_sgpr_workgroup_id_y 0
		.amdhsa_system_sgpr_workgroup_id_z 1
		.amdhsa_system_sgpr_workgroup_info 0
		.amdhsa_system_vgpr_workitem_id 0
		.amdhsa_next_free_vgpr 6
		.amdhsa_next_free_sgpr 18
		.amdhsa_named_barrier_count 0
		.amdhsa_reserve_vcc 1
		.amdhsa_float_round_mode_32 0
		.amdhsa_float_round_mode_16_64 0
		.amdhsa_float_denorm_mode_32 3
		.amdhsa_float_denorm_mode_16_64 3
		.amdhsa_fp16_overflow 0
		.amdhsa_memory_ordered 1
		.amdhsa_forward_progress 1
		.amdhsa_inst_pref_size 4
		.amdhsa_round_robin_scheduling 0
		.amdhsa_exception_fp_ieee_invalid_op 0
		.amdhsa_exception_fp_denorm_src 0
		.amdhsa_exception_fp_ieee_div_zero 0
		.amdhsa_exception_fp_ieee_overflow 0
		.amdhsa_exception_fp_ieee_underflow 0
		.amdhsa_exception_fp_ieee_inexact 0
		.amdhsa_exception_int_div_zero 0
	.end_amdhsa_kernel
	.section	.text._ZL22rocblas_sscal_2_kernelILi256EffPKfPfEviT2_lT3_lli,"axG",@progbits,_ZL22rocblas_sscal_2_kernelILi256EffPKfPfEviT2_lT3_lli,comdat
.Lfunc_end14:
	.size	_ZL22rocblas_sscal_2_kernelILi256EffPKfPfEviT2_lT3_lli, .Lfunc_end14-_ZL22rocblas_sscal_2_kernelILi256EffPKfPfEviT2_lT3_lli
                                        ; -- End function
	.set _ZL22rocblas_sscal_2_kernelILi256EffPKfPfEviT2_lT3_lli.num_vgpr, 6
	.set _ZL22rocblas_sscal_2_kernelILi256EffPKfPfEviT2_lT3_lli.num_agpr, 0
	.set _ZL22rocblas_sscal_2_kernelILi256EffPKfPfEviT2_lT3_lli.numbered_sgpr, 18
	.set _ZL22rocblas_sscal_2_kernelILi256EffPKfPfEviT2_lT3_lli.num_named_barrier, 0
	.set _ZL22rocblas_sscal_2_kernelILi256EffPKfPfEviT2_lT3_lli.private_seg_size, 0
	.set _ZL22rocblas_sscal_2_kernelILi256EffPKfPfEviT2_lT3_lli.uses_vcc, 1
	.set _ZL22rocblas_sscal_2_kernelILi256EffPKfPfEviT2_lT3_lli.uses_flat_scratch, 0
	.set _ZL22rocblas_sscal_2_kernelILi256EffPKfPfEviT2_lT3_lli.has_dyn_sized_stack, 0
	.set _ZL22rocblas_sscal_2_kernelILi256EffPKfPfEviT2_lT3_lli.has_recursion, 0
	.set _ZL22rocblas_sscal_2_kernelILi256EffPKfPfEviT2_lT3_lli.has_indirect_call, 0
	.section	.AMDGPU.csdata,"",@progbits
; Kernel info:
; codeLenInByte = 408
; TotalNumSgprs: 20
; NumVgprs: 6
; ScratchSize: 0
; MemoryBound: 0
; FloatMode: 240
; IeeeMode: 1
; LDSByteSize: 0 bytes/workgroup (compile time only)
; SGPRBlocks: 0
; VGPRBlocks: 0
; NumSGPRsForWavesPerEU: 20
; NumVGPRsForWavesPerEU: 6
; NamedBarCnt: 0
; Occupancy: 16
; WaveLimiterHint : 0
; COMPUTE_PGM_RSRC2:SCRATCH_EN: 0
; COMPUTE_PGM_RSRC2:USER_SGPR: 2
; COMPUTE_PGM_RSRC2:TRAP_HANDLER: 0
; COMPUTE_PGM_RSRC2:TGID_X_EN: 1
; COMPUTE_PGM_RSRC2:TGID_Y_EN: 0
; COMPUTE_PGM_RSRC2:TGID_Z_EN: 1
; COMPUTE_PGM_RSRC2:TIDIG_COMP_CNT: 0
	.section	.text._ZL22rocblas_sscal_2_kernelILi256EfffPfEviT2_lT3_lli,"axG",@progbits,_ZL22rocblas_sscal_2_kernelILi256EfffPfEviT2_lT3_lli,comdat
	.globl	_ZL22rocblas_sscal_2_kernelILi256EfffPfEviT2_lT3_lli ; -- Begin function _ZL22rocblas_sscal_2_kernelILi256EfffPfEviT2_lT3_lli
	.p2align	8
	.type	_ZL22rocblas_sscal_2_kernelILi256EfffPfEviT2_lT3_lli,@function
_ZL22rocblas_sscal_2_kernelILi256EfffPfEviT2_lT3_lli: ; @_ZL22rocblas_sscal_2_kernelILi256EfffPfEviT2_lT3_lli
; %bb.0:
	s_load_b32 s10, s[0:1], 0x28
	s_bfe_u32 s2, ttmp6, 0x40014
	s_lshr_b32 s3, ttmp7, 16
	s_add_co_i32 s2, s2, 1
	s_bfe_u32 s4, ttmp6, 0x40008
	s_mul_i32 s2, s3, s2
	s_getreg_b32 s11, hwreg(HW_REG_IB_STS2, 6, 4)
	s_add_co_i32 s4, s4, s2
	s_cmp_eq_u32 s11, 0
	s_cselect_b32 s2, s3, s4
	s_mov_b32 s3, 0
	s_wait_kmcnt 0x0
	s_cmp_ge_u32 s2, s10
	s_cbranch_scc1 .LBB15_9
; %bb.1:
	s_clause 0x1
	s_load_b128 s[4:7], s[0:1], 0x18
	s_load_b64 s[8:9], s[0:1], 0x0
	s_bfe_u32 s12, ttmp6, 0x4000c
	s_and_b32 s14, ttmp6, 15
	s_add_co_i32 s12, s12, 1
	v_dual_mov_b32 v1, 0 :: v_dual_lshlrev_b32 v0, 1, v0
	s_mul_i32 s15, ttmp9, s12
	s_load_b64 s[12:13], s[0:1], 0x10
	s_add_co_i32 s14, s14, s15
	s_wait_kmcnt 0x0
	s_lshl_b64 s[4:5], s[4:5], 2
	s_cmp_eq_u32 s11, 0
	s_cselect_b32 s0, ttmp9, s14
	s_cmp_neq_f32 s9, 1.0
	v_lshl_or_b32 v0, s0, 9, v0
	s_add_nc_u64 s[4:5], s[12:13], s[4:5]
	s_cselect_b32 s1, -1, 0
	s_bitcmp1_b32 s8, 0
	s_delay_alu instid0(VALU_DEP_1) | instskip(SKIP_2) | instid1(SALU_CYCLE_1)
	v_or_b32_e32 v2, 1, v0
	s_cselect_b32 s11, -1, 0
	s_add_co_i32 s0, s8, -1
	v_cmp_eq_u32_e32 vcc_lo, s0, v0
	s_delay_alu instid0(VALU_DEP_2)
	v_cmp_gt_u32_e64 s0, s8, v2
	s_mov_b32 s8, s9
	s_and_b32 s11, s11, vcc_lo
	s_branch .LBB15_4
.LBB15_2:                               ;   in Loop: Header=BB15_4 Depth=1
	s_wait_xcnt 0x0
	s_or_b32 exec_lo, exec_lo, s12
.LBB15_3:                               ;   in Loop: Header=BB15_4 Depth=1
	s_add_co_i32 s2, s2, 0x10000
	s_delay_alu instid0(SALU_CYCLE_1)
	s_cmp_lt_u32 s2, s10
	s_cbranch_scc0 .LBB15_9
.LBB15_4:                               ; =>This Inner Loop Header: Depth=1
	s_and_not1_b32 vcc_lo, exec_lo, s1
	s_cbranch_vccnz .LBB15_3
; %bb.5:                                ;   in Loop: Header=BB15_4 Depth=1
	s_mul_u64 s[12:13], s[6:7], s[2:3]
	s_delay_alu instid0(SALU_CYCLE_1) | instskip(NEXT) | instid1(SALU_CYCLE_1)
	s_lshl_b64 s[12:13], s[12:13], 2
	s_add_nc_u64 s[12:13], s[4:5], s[12:13]
	s_delay_alu instid0(SALU_CYCLE_1)
	v_lshl_add_u64 v[2:3], v[0:1], 2, s[12:13]
	s_and_saveexec_b32 s12, s0
	s_cbranch_execz .LBB15_7
; %bb.6:                                ;   in Loop: Header=BB15_4 Depth=1
	global_load_b64 v[4:5], v[2:3], off
	v_mov_b64_e32 v[6:7], s[8:9]
	s_wait_loadcnt 0x0
	s_delay_alu instid0(VALU_DEP_1)
	v_pk_mul_f32 v[4:5], v[6:7], v[4:5]
	global_store_b64 v[2:3], v[4:5], off
.LBB15_7:                               ;   in Loop: Header=BB15_4 Depth=1
	s_wait_xcnt 0x0
	s_or_b32 exec_lo, exec_lo, s12
	s_and_saveexec_b32 s12, s11
	s_cbranch_execz .LBB15_2
; %bb.8:                                ;   in Loop: Header=BB15_4 Depth=1
	global_load_b32 v4, v[2:3], off
	s_wait_loadcnt 0x0
	v_mul_f32_e32 v4, s9, v4
	global_store_b32 v[2:3], v4, off
	s_branch .LBB15_2
.LBB15_9:
	s_endpgm
	.section	.rodata,"a",@progbits
	.p2align	6, 0x0
	.amdhsa_kernel _ZL22rocblas_sscal_2_kernelILi256EfffPfEviT2_lT3_lli
		.amdhsa_group_segment_fixed_size 0
		.amdhsa_private_segment_fixed_size 0
		.amdhsa_kernarg_size 44
		.amdhsa_user_sgpr_count 2
		.amdhsa_user_sgpr_dispatch_ptr 0
		.amdhsa_user_sgpr_queue_ptr 0
		.amdhsa_user_sgpr_kernarg_segment_ptr 1
		.amdhsa_user_sgpr_dispatch_id 0
		.amdhsa_user_sgpr_kernarg_preload_length 0
		.amdhsa_user_sgpr_kernarg_preload_offset 0
		.amdhsa_user_sgpr_private_segment_size 0
		.amdhsa_wavefront_size32 1
		.amdhsa_uses_dynamic_stack 0
		.amdhsa_enable_private_segment 0
		.amdhsa_system_sgpr_workgroup_id_x 1
		.amdhsa_system_sgpr_workgroup_id_y 0
		.amdhsa_system_sgpr_workgroup_id_z 1
		.amdhsa_system_sgpr_workgroup_info 0
		.amdhsa_system_vgpr_workitem_id 0
		.amdhsa_next_free_vgpr 8
		.amdhsa_next_free_sgpr 16
		.amdhsa_named_barrier_count 0
		.amdhsa_reserve_vcc 1
		.amdhsa_float_round_mode_32 0
		.amdhsa_float_round_mode_16_64 0
		.amdhsa_float_denorm_mode_32 3
		.amdhsa_float_denorm_mode_16_64 3
		.amdhsa_fp16_overflow 0
		.amdhsa_memory_ordered 1
		.amdhsa_forward_progress 1
		.amdhsa_inst_pref_size 3
		.amdhsa_round_robin_scheduling 0
		.amdhsa_exception_fp_ieee_invalid_op 0
		.amdhsa_exception_fp_denorm_src 0
		.amdhsa_exception_fp_ieee_div_zero 0
		.amdhsa_exception_fp_ieee_overflow 0
		.amdhsa_exception_fp_ieee_underflow 0
		.amdhsa_exception_fp_ieee_inexact 0
		.amdhsa_exception_int_div_zero 0
	.end_amdhsa_kernel
	.section	.text._ZL22rocblas_sscal_2_kernelILi256EfffPfEviT2_lT3_lli,"axG",@progbits,_ZL22rocblas_sscal_2_kernelILi256EfffPfEviT2_lT3_lli,comdat
.Lfunc_end15:
	.size	_ZL22rocblas_sscal_2_kernelILi256EfffPfEviT2_lT3_lli, .Lfunc_end15-_ZL22rocblas_sscal_2_kernelILi256EfffPfEviT2_lT3_lli
                                        ; -- End function
	.set _ZL22rocblas_sscal_2_kernelILi256EfffPfEviT2_lT3_lli.num_vgpr, 8
	.set _ZL22rocblas_sscal_2_kernelILi256EfffPfEviT2_lT3_lli.num_agpr, 0
	.set _ZL22rocblas_sscal_2_kernelILi256EfffPfEviT2_lT3_lli.numbered_sgpr, 16
	.set _ZL22rocblas_sscal_2_kernelILi256EfffPfEviT2_lT3_lli.num_named_barrier, 0
	.set _ZL22rocblas_sscal_2_kernelILi256EfffPfEviT2_lT3_lli.private_seg_size, 0
	.set _ZL22rocblas_sscal_2_kernelILi256EfffPfEviT2_lT3_lli.uses_vcc, 1
	.set _ZL22rocblas_sscal_2_kernelILi256EfffPfEviT2_lT3_lli.uses_flat_scratch, 0
	.set _ZL22rocblas_sscal_2_kernelILi256EfffPfEviT2_lT3_lli.has_dyn_sized_stack, 0
	.set _ZL22rocblas_sscal_2_kernelILi256EfffPfEviT2_lT3_lli.has_recursion, 0
	.set _ZL22rocblas_sscal_2_kernelILi256EfffPfEviT2_lT3_lli.has_indirect_call, 0
	.section	.AMDGPU.csdata,"",@progbits
; Kernel info:
; codeLenInByte = 384
; TotalNumSgprs: 18
; NumVgprs: 8
; ScratchSize: 0
; MemoryBound: 0
; FloatMode: 240
; IeeeMode: 1
; LDSByteSize: 0 bytes/workgroup (compile time only)
; SGPRBlocks: 0
; VGPRBlocks: 0
; NumSGPRsForWavesPerEU: 18
; NumVGPRsForWavesPerEU: 8
; NamedBarCnt: 0
; Occupancy: 16
; WaveLimiterHint : 0
; COMPUTE_PGM_RSRC2:SCRATCH_EN: 0
; COMPUTE_PGM_RSRC2:USER_SGPR: 2
; COMPUTE_PGM_RSRC2:TRAP_HANDLER: 0
; COMPUTE_PGM_RSRC2:TGID_X_EN: 1
; COMPUTE_PGM_RSRC2:TGID_Y_EN: 0
; COMPUTE_PGM_RSRC2:TGID_Z_EN: 1
; COMPUTE_PGM_RSRC2:TIDIG_COMP_CNT: 0
	.section	.text._ZL19rocblas_scal_kernelIiLi256EffPKfPfEviT3_lT4_lT_li,"axG",@progbits,_ZL19rocblas_scal_kernelIiLi256EffPKfPfEviT3_lT4_lT_li,comdat
	.globl	_ZL19rocblas_scal_kernelIiLi256EffPKfPfEviT3_lT4_lT_li ; -- Begin function _ZL19rocblas_scal_kernelIiLi256EffPKfPfEviT3_lT4_lT_li
	.p2align	8
	.type	_ZL19rocblas_scal_kernelIiLi256EffPKfPfEviT3_lT4_lT_li,@function
_ZL19rocblas_scal_kernelIiLi256EffPKfPfEviT3_lT4_lT_li: ; @_ZL19rocblas_scal_kernelIiLi256EffPKfPfEviT3_lT4_lT_li
; %bb.0:
	s_load_b32 s14, s[0:1], 0x38
	s_bfe_u32 s2, ttmp6, 0x40014
	s_lshr_b32 s3, ttmp7, 16
	s_add_co_i32 s2, s2, 1
	s_bfe_u32 s4, ttmp6, 0x40008
	s_mul_i32 s2, s3, s2
	s_getreg_b32 s15, hwreg(HW_REG_IB_STS2, 6, 4)
	s_add_co_i32 s4, s4, s2
	s_cmp_eq_u32 s15, 0
	s_cselect_b32 s2, s3, s4
	s_mov_b32 s3, 0
	s_wait_kmcnt 0x0
	s_cmp_ge_u32 s2, s14
	s_cbranch_scc1 .LBB16_5
; %bb.1:
	s_clause 0x1
	s_load_b32 s16, s[0:1], 0x28
	s_load_b256 s[4:11], s[0:1], 0x8
	s_bfe_u32 s12, ttmp6, 0x4000c
	s_and_b32 s17, ttmp6, 15
	s_add_co_i32 s12, s12, 1
	v_mov_b32_e32 v1, 0
	s_mul_i32 s18, ttmp9, s12
	s_load_b64 s[12:13], s[0:1], 0x30
	s_add_co_i32 s18, s17, s18
	s_wait_kmcnt 0x0
	s_ashr_i32 s17, s16, 31
	s_lshl_b64 s[10:11], s[10:11], 2
	s_cmp_eq_u32 s15, 0
	s_cselect_b32 s15, ttmp9, s18
	s_delay_alu instid0(SALU_CYCLE_1) | instskip(SKIP_3) | instid1(VALU_DEP_1)
	v_lshl_or_b32 v0, s15, 8, v0
	s_load_b32 s15, s[0:1], 0x0
	s_wait_xcnt 0x0
	s_add_nc_u64 s[0:1], s[8:9], s[10:11]
	v_mul_u64_e32 v[2:3], s[16:17], v[0:1]
	s_wait_kmcnt 0x0
	v_cmp_gt_u32_e32 vcc_lo, s15, v0
	s_delay_alu instid0(VALU_DEP_2)
	v_lshl_add_u64 v[2:3], v[2:3], 2, s[0:1]
	s_branch .LBB16_3
.LBB16_2:                               ;   in Loop: Header=BB16_3 Depth=1
	s_wait_xcnt 0x0
	s_or_b32 exec_lo, exec_lo, s0
	s_add_co_i32 s2, s2, 0x10000
	s_delay_alu instid0(SALU_CYCLE_1)
	s_cmp_lt_u32 s2, s14
	s_cbranch_scc0 .LBB16_5
.LBB16_3:                               ; =>This Inner Loop Header: Depth=1
	s_mul_u64 s[0:1], s[6:7], s[2:3]
	s_delay_alu instid0(SALU_CYCLE_1) | instskip(NEXT) | instid1(SALU_CYCLE_1)
	s_lshl_b64 s[0:1], s[0:1], 2
	s_add_nc_u64 s[0:1], s[4:5], s[0:1]
	global_load_b32 v0, v1, s[0:1]
	s_wait_loadcnt 0x0
	s_wait_xcnt 0x0
	v_readfirstlane_b32 s0, v0
	s_cmp_neq_f32 s0, 1.0
	s_cselect_b32 s0, -1, 0
	s_delay_alu instid0(SALU_CYCLE_1) | instskip(NEXT) | instid1(SALU_CYCLE_1)
	s_and_b32 s1, vcc_lo, s0
	s_and_saveexec_b32 s0, s1
	s_cbranch_execz .LBB16_2
; %bb.4:                                ;   in Loop: Header=BB16_3 Depth=1
	s_mul_u64 s[8:9], s[12:13], s[2:3]
	s_delay_alu instid0(SALU_CYCLE_1)
	v_lshl_add_u64 v[4:5], s[8:9], 2, v[2:3]
	global_load_b32 v6, v[4:5], off
	s_wait_loadcnt 0x0
	v_mul_f32_e32 v0, v0, v6
	global_store_b32 v[4:5], v0, off
	s_branch .LBB16_2
.LBB16_5:
	s_endpgm
	.section	.rodata,"a",@progbits
	.p2align	6, 0x0
	.amdhsa_kernel _ZL19rocblas_scal_kernelIiLi256EffPKfPfEviT3_lT4_lT_li
		.amdhsa_group_segment_fixed_size 0
		.amdhsa_private_segment_fixed_size 0
		.amdhsa_kernarg_size 60
		.amdhsa_user_sgpr_count 2
		.amdhsa_user_sgpr_dispatch_ptr 0
		.amdhsa_user_sgpr_queue_ptr 0
		.amdhsa_user_sgpr_kernarg_segment_ptr 1
		.amdhsa_user_sgpr_dispatch_id 0
		.amdhsa_user_sgpr_kernarg_preload_length 0
		.amdhsa_user_sgpr_kernarg_preload_offset 0
		.amdhsa_user_sgpr_private_segment_size 0
		.amdhsa_wavefront_size32 1
		.amdhsa_uses_dynamic_stack 0
		.amdhsa_enable_private_segment 0
		.amdhsa_system_sgpr_workgroup_id_x 1
		.amdhsa_system_sgpr_workgroup_id_y 0
		.amdhsa_system_sgpr_workgroup_id_z 1
		.amdhsa_system_sgpr_workgroup_info 0
		.amdhsa_system_vgpr_workitem_id 0
		.amdhsa_next_free_vgpr 7
		.amdhsa_next_free_sgpr 19
		.amdhsa_named_barrier_count 0
		.amdhsa_reserve_vcc 1
		.amdhsa_float_round_mode_32 0
		.amdhsa_float_round_mode_16_64 0
		.amdhsa_float_denorm_mode_32 3
		.amdhsa_float_denorm_mode_16_64 3
		.amdhsa_fp16_overflow 0
		.amdhsa_memory_ordered 1
		.amdhsa_forward_progress 1
		.amdhsa_inst_pref_size 3
		.amdhsa_round_robin_scheduling 0
		.amdhsa_exception_fp_ieee_invalid_op 0
		.amdhsa_exception_fp_denorm_src 0
		.amdhsa_exception_fp_ieee_div_zero 0
		.amdhsa_exception_fp_ieee_overflow 0
		.amdhsa_exception_fp_ieee_underflow 0
		.amdhsa_exception_fp_ieee_inexact 0
		.amdhsa_exception_int_div_zero 0
	.end_amdhsa_kernel
	.section	.text._ZL19rocblas_scal_kernelIiLi256EffPKfPfEviT3_lT4_lT_li,"axG",@progbits,_ZL19rocblas_scal_kernelIiLi256EffPKfPfEviT3_lT4_lT_li,comdat
.Lfunc_end16:
	.size	_ZL19rocblas_scal_kernelIiLi256EffPKfPfEviT3_lT4_lT_li, .Lfunc_end16-_ZL19rocblas_scal_kernelIiLi256EffPKfPfEviT3_lT4_lT_li
                                        ; -- End function
	.set _ZL19rocblas_scal_kernelIiLi256EffPKfPfEviT3_lT4_lT_li.num_vgpr, 7
	.set _ZL19rocblas_scal_kernelIiLi256EffPKfPfEviT3_lT4_lT_li.num_agpr, 0
	.set _ZL19rocblas_scal_kernelIiLi256EffPKfPfEviT3_lT4_lT_li.numbered_sgpr, 19
	.set _ZL19rocblas_scal_kernelIiLi256EffPKfPfEviT3_lT4_lT_li.num_named_barrier, 0
	.set _ZL19rocblas_scal_kernelIiLi256EffPKfPfEviT3_lT4_lT_li.private_seg_size, 0
	.set _ZL19rocblas_scal_kernelIiLi256EffPKfPfEviT3_lT4_lT_li.uses_vcc, 1
	.set _ZL19rocblas_scal_kernelIiLi256EffPKfPfEviT3_lT4_lT_li.uses_flat_scratch, 0
	.set _ZL19rocblas_scal_kernelIiLi256EffPKfPfEviT3_lT4_lT_li.has_dyn_sized_stack, 0
	.set _ZL19rocblas_scal_kernelIiLi256EffPKfPfEviT3_lT4_lT_li.has_recursion, 0
	.set _ZL19rocblas_scal_kernelIiLi256EffPKfPfEviT3_lT4_lT_li.has_indirect_call, 0
	.section	.AMDGPU.csdata,"",@progbits
; Kernel info:
; codeLenInByte = 348
; TotalNumSgprs: 21
; NumVgprs: 7
; ScratchSize: 0
; MemoryBound: 0
; FloatMode: 240
; IeeeMode: 1
; LDSByteSize: 0 bytes/workgroup (compile time only)
; SGPRBlocks: 0
; VGPRBlocks: 0
; NumSGPRsForWavesPerEU: 21
; NumVGPRsForWavesPerEU: 7
; NamedBarCnt: 0
; Occupancy: 16
; WaveLimiterHint : 0
; COMPUTE_PGM_RSRC2:SCRATCH_EN: 0
; COMPUTE_PGM_RSRC2:USER_SGPR: 2
; COMPUTE_PGM_RSRC2:TRAP_HANDLER: 0
; COMPUTE_PGM_RSRC2:TGID_X_EN: 1
; COMPUTE_PGM_RSRC2:TGID_Y_EN: 0
; COMPUTE_PGM_RSRC2:TGID_Z_EN: 1
; COMPUTE_PGM_RSRC2:TIDIG_COMP_CNT: 0
	.section	.text._ZL19rocblas_scal_kernelIiLi256EfffPfEviT3_lT4_lT_li,"axG",@progbits,_ZL19rocblas_scal_kernelIiLi256EfffPfEviT3_lT4_lT_li,comdat
	.globl	_ZL19rocblas_scal_kernelIiLi256EfffPfEviT3_lT4_lT_li ; -- Begin function _ZL19rocblas_scal_kernelIiLi256EfffPfEviT3_lT4_lT_li
	.p2align	8
	.type	_ZL19rocblas_scal_kernelIiLi256EfffPfEviT3_lT4_lT_li,@function
_ZL19rocblas_scal_kernelIiLi256EfffPfEviT3_lT4_lT_li: ; @_ZL19rocblas_scal_kernelIiLi256EfffPfEviT3_lT4_lT_li
; %bb.0:
	s_load_b32 s6, s[0:1], 0x30
	s_bfe_u32 s2, ttmp6, 0x40014
	s_lshr_b32 s3, ttmp7, 16
	s_add_co_i32 s2, s2, 1
	s_bfe_u32 s4, ttmp6, 0x40008
	s_mul_i32 s2, s3, s2
	s_getreg_b32 s7, hwreg(HW_REG_IB_STS2, 6, 4)
	s_add_co_i32 s4, s4, s2
	s_cmp_eq_u32 s7, 0
	s_cselect_b32 s2, s3, s4
	s_mov_b32 s3, 0
	s_wait_kmcnt 0x0
	s_cmp_ge_u32 s2, s6
	s_cbranch_scc1 .LBB17_5
; %bb.1:
	s_clause 0x1
	s_load_b32 s12, s[0:1], 0x20
	s_load_b128 s[8:11], s[0:1], 0x10
	s_bfe_u32 s4, ttmp6, 0x4000c
	s_and_b32 s13, ttmp6, 15
	s_add_co_i32 s4, s4, 1
	v_mov_b32_e32 v1, 0
	s_mul_i32 s14, ttmp9, s4
	s_load_b64 s[4:5], s[0:1], 0x28
	s_add_co_i32 s14, s13, s14
	s_wait_xcnt 0x0
	s_load_b64 s[0:1], s[0:1], 0x0
	s_wait_kmcnt 0x0
	s_ashr_i32 s13, s12, 31
	s_lshl_b64 s[10:11], s[10:11], 2
	s_cmp_eq_u32 s7, 0
	s_add_nc_u64 s[8:9], s[8:9], s[10:11]
	s_cselect_b32 s7, ttmp9, s14
	s_delay_alu instid0(SALU_CYCLE_1) | instskip(SKIP_1) | instid1(VALU_DEP_1)
	v_lshl_or_b32 v0, s7, 8, v0
	s_cmp_neq_f32 s1, 1.0
	v_mul_u64_e32 v[2:3], s[12:13], v[0:1]
	v_cmp_gt_u32_e32 vcc_lo, s0, v0
	s_cselect_b32 s0, -1, 0
	s_delay_alu instid0(SALU_CYCLE_1) | instskip(NEXT) | instid1(VALU_DEP_2)
	s_and_b32 s0, vcc_lo, s0
	v_lshl_add_u64 v[0:1], v[2:3], 2, s[8:9]
	s_branch .LBB17_3
.LBB17_2:                               ;   in Loop: Header=BB17_3 Depth=1
	s_wait_xcnt 0x0
	s_or_b32 exec_lo, exec_lo, s7
	s_add_co_i32 s2, s2, 0x10000
	s_delay_alu instid0(SALU_CYCLE_1)
	s_cmp_lt_u32 s2, s6
	s_cbranch_scc0 .LBB17_5
.LBB17_3:                               ; =>This Inner Loop Header: Depth=1
	s_and_saveexec_b32 s7, s0
	s_cbranch_execz .LBB17_2
; %bb.4:                                ;   in Loop: Header=BB17_3 Depth=1
	s_mul_u64 s[8:9], s[4:5], s[2:3]
	s_delay_alu instid0(SALU_CYCLE_1)
	v_lshl_add_u64 v[2:3], s[8:9], 2, v[0:1]
	global_load_b32 v4, v[2:3], off
	s_wait_loadcnt 0x0
	v_mul_f32_e32 v4, s1, v4
	global_store_b32 v[2:3], v4, off
	s_branch .LBB17_2
.LBB17_5:
	s_endpgm
	.section	.rodata,"a",@progbits
	.p2align	6, 0x0
	.amdhsa_kernel _ZL19rocblas_scal_kernelIiLi256EfffPfEviT3_lT4_lT_li
		.amdhsa_group_segment_fixed_size 0
		.amdhsa_private_segment_fixed_size 0
		.amdhsa_kernarg_size 52
		.amdhsa_user_sgpr_count 2
		.amdhsa_user_sgpr_dispatch_ptr 0
		.amdhsa_user_sgpr_queue_ptr 0
		.amdhsa_user_sgpr_kernarg_segment_ptr 1
		.amdhsa_user_sgpr_dispatch_id 0
		.amdhsa_user_sgpr_kernarg_preload_length 0
		.amdhsa_user_sgpr_kernarg_preload_offset 0
		.amdhsa_user_sgpr_private_segment_size 0
		.amdhsa_wavefront_size32 1
		.amdhsa_uses_dynamic_stack 0
		.amdhsa_enable_private_segment 0
		.amdhsa_system_sgpr_workgroup_id_x 1
		.amdhsa_system_sgpr_workgroup_id_y 0
		.amdhsa_system_sgpr_workgroup_id_z 1
		.amdhsa_system_sgpr_workgroup_info 0
		.amdhsa_system_vgpr_workitem_id 0
		.amdhsa_next_free_vgpr 5
		.amdhsa_next_free_sgpr 15
		.amdhsa_named_barrier_count 0
		.amdhsa_reserve_vcc 1
		.amdhsa_float_round_mode_32 0
		.amdhsa_float_round_mode_16_64 0
		.amdhsa_float_denorm_mode_32 3
		.amdhsa_float_denorm_mode_16_64 3
		.amdhsa_fp16_overflow 0
		.amdhsa_memory_ordered 1
		.amdhsa_forward_progress 1
		.amdhsa_inst_pref_size 3
		.amdhsa_round_robin_scheduling 0
		.amdhsa_exception_fp_ieee_invalid_op 0
		.amdhsa_exception_fp_denorm_src 0
		.amdhsa_exception_fp_ieee_div_zero 0
		.amdhsa_exception_fp_ieee_overflow 0
		.amdhsa_exception_fp_ieee_underflow 0
		.amdhsa_exception_fp_ieee_inexact 0
		.amdhsa_exception_int_div_zero 0
	.end_amdhsa_kernel
	.section	.text._ZL19rocblas_scal_kernelIiLi256EfffPfEviT3_lT4_lT_li,"axG",@progbits,_ZL19rocblas_scal_kernelIiLi256EfffPfEviT3_lT4_lT_li,comdat
.Lfunc_end17:
	.size	_ZL19rocblas_scal_kernelIiLi256EfffPfEviT3_lT4_lT_li, .Lfunc_end17-_ZL19rocblas_scal_kernelIiLi256EfffPfEviT3_lT4_lT_li
                                        ; -- End function
	.set _ZL19rocblas_scal_kernelIiLi256EfffPfEviT3_lT4_lT_li.num_vgpr, 5
	.set _ZL19rocblas_scal_kernelIiLi256EfffPfEviT3_lT4_lT_li.num_agpr, 0
	.set _ZL19rocblas_scal_kernelIiLi256EfffPfEviT3_lT4_lT_li.numbered_sgpr, 15
	.set _ZL19rocblas_scal_kernelIiLi256EfffPfEviT3_lT4_lT_li.num_named_barrier, 0
	.set _ZL19rocblas_scal_kernelIiLi256EfffPfEviT3_lT4_lT_li.private_seg_size, 0
	.set _ZL19rocblas_scal_kernelIiLi256EfffPfEviT3_lT4_lT_li.uses_vcc, 1
	.set _ZL19rocblas_scal_kernelIiLi256EfffPfEviT3_lT4_lT_li.uses_flat_scratch, 0
	.set _ZL19rocblas_scal_kernelIiLi256EfffPfEviT3_lT4_lT_li.has_dyn_sized_stack, 0
	.set _ZL19rocblas_scal_kernelIiLi256EfffPfEviT3_lT4_lT_li.has_recursion, 0
	.set _ZL19rocblas_scal_kernelIiLi256EfffPfEviT3_lT4_lT_li.has_indirect_call, 0
	.section	.AMDGPU.csdata,"",@progbits
; Kernel info:
; codeLenInByte = 300
; TotalNumSgprs: 17
; NumVgprs: 5
; ScratchSize: 0
; MemoryBound: 0
; FloatMode: 240
; IeeeMode: 1
; LDSByteSize: 0 bytes/workgroup (compile time only)
; SGPRBlocks: 0
; VGPRBlocks: 0
; NumSGPRsForWavesPerEU: 17
; NumVGPRsForWavesPerEU: 5
; NamedBarCnt: 0
; Occupancy: 16
; WaveLimiterHint : 0
; COMPUTE_PGM_RSRC2:SCRATCH_EN: 0
; COMPUTE_PGM_RSRC2:USER_SGPR: 2
; COMPUTE_PGM_RSRC2:TRAP_HANDLER: 0
; COMPUTE_PGM_RSRC2:TGID_X_EN: 1
; COMPUTE_PGM_RSRC2:TGID_Y_EN: 0
; COMPUTE_PGM_RSRC2:TGID_Z_EN: 1
; COMPUTE_PGM_RSRC2:TIDIG_COMP_CNT: 0
	.section	.text._ZL19rocblas_scal_kernelIlLi256EffPKfPfEviT3_lT4_lT_li,"axG",@progbits,_ZL19rocblas_scal_kernelIlLi256EffPKfPfEviT3_lT4_lT_li,comdat
	.globl	_ZL19rocblas_scal_kernelIlLi256EffPKfPfEviT3_lT4_lT_li ; -- Begin function _ZL19rocblas_scal_kernelIlLi256EffPKfPfEviT3_lT4_lT_li
	.p2align	8
	.type	_ZL19rocblas_scal_kernelIlLi256EffPKfPfEviT3_lT4_lT_li,@function
_ZL19rocblas_scal_kernelIlLi256EffPKfPfEviT3_lT4_lT_li: ; @_ZL19rocblas_scal_kernelIlLi256EffPKfPfEviT3_lT4_lT_li
; %bb.0:
	s_load_b32 s16, s[0:1], 0x38
	s_bfe_u32 s2, ttmp6, 0x40014
	s_lshr_b32 s3, ttmp7, 16
	s_add_co_i32 s2, s2, 1
	s_bfe_u32 s4, ttmp6, 0x40008
	s_mul_i32 s2, s3, s2
	s_getreg_b32 s17, hwreg(HW_REG_IB_STS2, 6, 4)
	s_add_co_i32 s4, s4, s2
	s_cmp_eq_u32 s17, 0
	s_cselect_b32 s2, s3, s4
	s_mov_b32 s3, 0
	s_wait_kmcnt 0x0
	s_cmp_ge_u32 s2, s16
	s_cbranch_scc1 .LBB18_5
; %bb.1:
	s_clause 0x1
	s_load_b256 s[4:11], s[0:1], 0x8
	s_load_b128 s[12:15], s[0:1], 0x28
	s_bfe_u32 s18, ttmp6, 0x4000c
	s_and_b32 s19, ttmp6, 15
	s_add_co_i32 s18, s18, 1
	v_mov_b32_e32 v1, 0
	s_mul_i32 s18, ttmp9, s18
	s_delay_alu instid0(SALU_CYCLE_1) | instskip(SKIP_4) | instid1(SALU_CYCLE_1)
	s_add_co_i32 s19, s19, s18
	s_wait_kmcnt 0x0
	s_lshl_b64 s[10:11], s[10:11], 2
	s_cmp_eq_u32 s17, 0
	s_cselect_b32 s17, ttmp9, s19
	v_lshl_or_b32 v0, s17, 8, v0
	s_delay_alu instid0(VALU_DEP_1)
	v_mul_u64_e32 v[2:3], s[12:13], v[0:1]
	s_load_b32 s12, s[0:1], 0x0
	s_wait_xcnt 0x0
	s_add_nc_u64 s[0:1], s[8:9], s[10:11]
	s_wait_kmcnt 0x0
	v_cmp_gt_u32_e32 vcc_lo, s12, v0
	s_delay_alu instid0(VALU_DEP_2)
	v_lshl_add_u64 v[2:3], v[2:3], 2, s[0:1]
	s_branch .LBB18_3
.LBB18_2:                               ;   in Loop: Header=BB18_3 Depth=1
	s_wait_xcnt 0x0
	s_or_b32 exec_lo, exec_lo, s0
	s_add_co_i32 s2, s2, 0x10000
	s_delay_alu instid0(SALU_CYCLE_1)
	s_cmp_lt_u32 s2, s16
	s_cbranch_scc0 .LBB18_5
.LBB18_3:                               ; =>This Inner Loop Header: Depth=1
	s_mul_u64 s[0:1], s[6:7], s[2:3]
	s_delay_alu instid0(SALU_CYCLE_1) | instskip(NEXT) | instid1(SALU_CYCLE_1)
	s_lshl_b64 s[0:1], s[0:1], 2
	s_add_nc_u64 s[0:1], s[4:5], s[0:1]
	global_load_b32 v0, v1, s[0:1]
	s_wait_loadcnt 0x0
	s_wait_xcnt 0x0
	v_readfirstlane_b32 s0, v0
	s_cmp_neq_f32 s0, 1.0
	s_cselect_b32 s0, -1, 0
	s_delay_alu instid0(SALU_CYCLE_1) | instskip(NEXT) | instid1(SALU_CYCLE_1)
	s_and_b32 s1, vcc_lo, s0
	s_and_saveexec_b32 s0, s1
	s_cbranch_execz .LBB18_2
; %bb.4:                                ;   in Loop: Header=BB18_3 Depth=1
	s_mul_u64 s[8:9], s[14:15], s[2:3]
	s_delay_alu instid0(SALU_CYCLE_1)
	v_lshl_add_u64 v[4:5], s[8:9], 2, v[2:3]
	global_load_b32 v6, v[4:5], off
	s_wait_loadcnt 0x0
	v_mul_f32_e32 v0, v0, v6
	global_store_b32 v[4:5], v0, off
	s_branch .LBB18_2
.LBB18_5:
	s_endpgm
	.section	.rodata,"a",@progbits
	.p2align	6, 0x0
	.amdhsa_kernel _ZL19rocblas_scal_kernelIlLi256EffPKfPfEviT3_lT4_lT_li
		.amdhsa_group_segment_fixed_size 0
		.amdhsa_private_segment_fixed_size 0
		.amdhsa_kernarg_size 60
		.amdhsa_user_sgpr_count 2
		.amdhsa_user_sgpr_dispatch_ptr 0
		.amdhsa_user_sgpr_queue_ptr 0
		.amdhsa_user_sgpr_kernarg_segment_ptr 1
		.amdhsa_user_sgpr_dispatch_id 0
		.amdhsa_user_sgpr_kernarg_preload_length 0
		.amdhsa_user_sgpr_kernarg_preload_offset 0
		.amdhsa_user_sgpr_private_segment_size 0
		.amdhsa_wavefront_size32 1
		.amdhsa_uses_dynamic_stack 0
		.amdhsa_enable_private_segment 0
		.amdhsa_system_sgpr_workgroup_id_x 1
		.amdhsa_system_sgpr_workgroup_id_y 0
		.amdhsa_system_sgpr_workgroup_id_z 1
		.amdhsa_system_sgpr_workgroup_info 0
		.amdhsa_system_vgpr_workitem_id 0
		.amdhsa_next_free_vgpr 7
		.amdhsa_next_free_sgpr 20
		.amdhsa_named_barrier_count 0
		.amdhsa_reserve_vcc 1
		.amdhsa_float_round_mode_32 0
		.amdhsa_float_round_mode_16_64 0
		.amdhsa_float_denorm_mode_32 3
		.amdhsa_float_denorm_mode_16_64 3
		.amdhsa_fp16_overflow 0
		.amdhsa_memory_ordered 1
		.amdhsa_forward_progress 1
		.amdhsa_inst_pref_size 3
		.amdhsa_round_robin_scheduling 0
		.amdhsa_exception_fp_ieee_invalid_op 0
		.amdhsa_exception_fp_denorm_src 0
		.amdhsa_exception_fp_ieee_div_zero 0
		.amdhsa_exception_fp_ieee_overflow 0
		.amdhsa_exception_fp_ieee_underflow 0
		.amdhsa_exception_fp_ieee_inexact 0
		.amdhsa_exception_int_div_zero 0
	.end_amdhsa_kernel
	.section	.text._ZL19rocblas_scal_kernelIlLi256EffPKfPfEviT3_lT4_lT_li,"axG",@progbits,_ZL19rocblas_scal_kernelIlLi256EffPKfPfEviT3_lT4_lT_li,comdat
.Lfunc_end18:
	.size	_ZL19rocblas_scal_kernelIlLi256EffPKfPfEviT3_lT4_lT_li, .Lfunc_end18-_ZL19rocblas_scal_kernelIlLi256EffPKfPfEviT3_lT4_lT_li
                                        ; -- End function
	.set _ZL19rocblas_scal_kernelIlLi256EffPKfPfEviT3_lT4_lT_li.num_vgpr, 7
	.set _ZL19rocblas_scal_kernelIlLi256EffPKfPfEviT3_lT4_lT_li.num_agpr, 0
	.set _ZL19rocblas_scal_kernelIlLi256EffPKfPfEviT3_lT4_lT_li.numbered_sgpr, 20
	.set _ZL19rocblas_scal_kernelIlLi256EffPKfPfEviT3_lT4_lT_li.num_named_barrier, 0
	.set _ZL19rocblas_scal_kernelIlLi256EffPKfPfEviT3_lT4_lT_li.private_seg_size, 0
	.set _ZL19rocblas_scal_kernelIlLi256EffPKfPfEviT3_lT4_lT_li.uses_vcc, 1
	.set _ZL19rocblas_scal_kernelIlLi256EffPKfPfEviT3_lT4_lT_li.uses_flat_scratch, 0
	.set _ZL19rocblas_scal_kernelIlLi256EffPKfPfEviT3_lT4_lT_li.has_dyn_sized_stack, 0
	.set _ZL19rocblas_scal_kernelIlLi256EffPKfPfEviT3_lT4_lT_li.has_recursion, 0
	.set _ZL19rocblas_scal_kernelIlLi256EffPKfPfEviT3_lT4_lT_li.has_indirect_call, 0
	.section	.AMDGPU.csdata,"",@progbits
; Kernel info:
; codeLenInByte = 340
; TotalNumSgprs: 22
; NumVgprs: 7
; ScratchSize: 0
; MemoryBound: 0
; FloatMode: 240
; IeeeMode: 1
; LDSByteSize: 0 bytes/workgroup (compile time only)
; SGPRBlocks: 0
; VGPRBlocks: 0
; NumSGPRsForWavesPerEU: 22
; NumVGPRsForWavesPerEU: 7
; NamedBarCnt: 0
; Occupancy: 16
; WaveLimiterHint : 0
; COMPUTE_PGM_RSRC2:SCRATCH_EN: 0
; COMPUTE_PGM_RSRC2:USER_SGPR: 2
; COMPUTE_PGM_RSRC2:TRAP_HANDLER: 0
; COMPUTE_PGM_RSRC2:TGID_X_EN: 1
; COMPUTE_PGM_RSRC2:TGID_Y_EN: 0
; COMPUTE_PGM_RSRC2:TGID_Z_EN: 1
; COMPUTE_PGM_RSRC2:TIDIG_COMP_CNT: 0
	.section	.text._ZL19rocblas_scal_kernelIlLi256EfffPfEviT3_lT4_lT_li,"axG",@progbits,_ZL19rocblas_scal_kernelIlLi256EfffPfEviT3_lT4_lT_li,comdat
	.globl	_ZL19rocblas_scal_kernelIlLi256EfffPfEviT3_lT4_lT_li ; -- Begin function _ZL19rocblas_scal_kernelIlLi256EfffPfEviT3_lT4_lT_li
	.p2align	8
	.type	_ZL19rocblas_scal_kernelIlLi256EfffPfEviT3_lT4_lT_li,@function
_ZL19rocblas_scal_kernelIlLi256EfffPfEviT3_lT4_lT_li: ; @_ZL19rocblas_scal_kernelIlLi256EfffPfEviT3_lT4_lT_li
; %bb.0:
	s_load_b32 s12, s[0:1], 0x30
	s_bfe_u32 s2, ttmp6, 0x40014
	s_lshr_b32 s3, ttmp7, 16
	s_add_co_i32 s2, s2, 1
	s_bfe_u32 s4, ttmp6, 0x40008
	s_mul_i32 s2, s3, s2
	s_getreg_b32 s13, hwreg(HW_REG_IB_STS2, 6, 4)
	s_add_co_i32 s4, s4, s2
	s_cmp_eq_u32 s13, 0
	s_cselect_b32 s2, s3, s4
	s_mov_b32 s3, 0
	s_wait_kmcnt 0x0
	s_cmp_ge_u32 s2, s12
	s_cbranch_scc1 .LBB19_5
; %bb.1:
	s_load_b256 s[4:11], s[0:1], 0x10
	s_bfe_u32 s14, ttmp6, 0x4000c
	s_and_b32 s15, ttmp6, 15
	s_add_co_i32 s14, s14, 1
	v_mov_b32_e32 v1, 0
	s_mul_i32 s14, ttmp9, s14
	s_wait_xcnt 0x0
	s_load_b64 s[0:1], s[0:1], 0x0
	s_add_co_i32 s15, s15, s14
	s_wait_kmcnt 0x0
	s_lshl_b64 s[6:7], s[6:7], 2
	s_cmp_eq_u32 s13, 0
	s_add_nc_u64 s[4:5], s[4:5], s[6:7]
	s_cselect_b32 s13, ttmp9, s15
	s_delay_alu instid0(SALU_CYCLE_1) | instskip(SKIP_1) | instid1(VALU_DEP_1)
	v_lshl_or_b32 v0, s13, 8, v0
	s_cmp_neq_f32 s1, 1.0
	v_mul_u64_e32 v[2:3], s[8:9], v[0:1]
	v_cmp_gt_u32_e32 vcc_lo, s0, v0
	s_cselect_b32 s0, -1, 0
	s_delay_alu instid0(SALU_CYCLE_1) | instskip(NEXT) | instid1(VALU_DEP_2)
	s_and_b32 s0, vcc_lo, s0
	v_lshl_add_u64 v[0:1], v[2:3], 2, s[4:5]
	s_branch .LBB19_3
.LBB19_2:                               ;   in Loop: Header=BB19_3 Depth=1
	s_wait_xcnt 0x0
	s_or_b32 exec_lo, exec_lo, s4
	s_add_co_i32 s2, s2, 0x10000
	s_delay_alu instid0(SALU_CYCLE_1)
	s_cmp_lt_u32 s2, s12
	s_cbranch_scc0 .LBB19_5
.LBB19_3:                               ; =>This Inner Loop Header: Depth=1
	s_and_saveexec_b32 s4, s0
	s_cbranch_execz .LBB19_2
; %bb.4:                                ;   in Loop: Header=BB19_3 Depth=1
	s_mul_u64 s[6:7], s[10:11], s[2:3]
	s_delay_alu instid0(SALU_CYCLE_1)
	v_lshl_add_u64 v[2:3], s[6:7], 2, v[0:1]
	global_load_b32 v4, v[2:3], off
	s_wait_loadcnt 0x0
	v_mul_f32_e32 v4, s1, v4
	global_store_b32 v[2:3], v4, off
	s_branch .LBB19_2
.LBB19_5:
	s_endpgm
	.section	.rodata,"a",@progbits
	.p2align	6, 0x0
	.amdhsa_kernel _ZL19rocblas_scal_kernelIlLi256EfffPfEviT3_lT4_lT_li
		.amdhsa_group_segment_fixed_size 0
		.amdhsa_private_segment_fixed_size 0
		.amdhsa_kernarg_size 52
		.amdhsa_user_sgpr_count 2
		.amdhsa_user_sgpr_dispatch_ptr 0
		.amdhsa_user_sgpr_queue_ptr 0
		.amdhsa_user_sgpr_kernarg_segment_ptr 1
		.amdhsa_user_sgpr_dispatch_id 0
		.amdhsa_user_sgpr_kernarg_preload_length 0
		.amdhsa_user_sgpr_kernarg_preload_offset 0
		.amdhsa_user_sgpr_private_segment_size 0
		.amdhsa_wavefront_size32 1
		.amdhsa_uses_dynamic_stack 0
		.amdhsa_enable_private_segment 0
		.amdhsa_system_sgpr_workgroup_id_x 1
		.amdhsa_system_sgpr_workgroup_id_y 0
		.amdhsa_system_sgpr_workgroup_id_z 1
		.amdhsa_system_sgpr_workgroup_info 0
		.amdhsa_system_vgpr_workitem_id 0
		.amdhsa_next_free_vgpr 5
		.amdhsa_next_free_sgpr 16
		.amdhsa_named_barrier_count 0
		.amdhsa_reserve_vcc 1
		.amdhsa_float_round_mode_32 0
		.amdhsa_float_round_mode_16_64 0
		.amdhsa_float_denorm_mode_32 3
		.amdhsa_float_denorm_mode_16_64 3
		.amdhsa_fp16_overflow 0
		.amdhsa_memory_ordered 1
		.amdhsa_forward_progress 1
		.amdhsa_inst_pref_size 3
		.amdhsa_round_robin_scheduling 0
		.amdhsa_exception_fp_ieee_invalid_op 0
		.amdhsa_exception_fp_denorm_src 0
		.amdhsa_exception_fp_ieee_div_zero 0
		.amdhsa_exception_fp_ieee_overflow 0
		.amdhsa_exception_fp_ieee_underflow 0
		.amdhsa_exception_fp_ieee_inexact 0
		.amdhsa_exception_int_div_zero 0
	.end_amdhsa_kernel
	.section	.text._ZL19rocblas_scal_kernelIlLi256EfffPfEviT3_lT4_lT_li,"axG",@progbits,_ZL19rocblas_scal_kernelIlLi256EfffPfEviT3_lT4_lT_li,comdat
.Lfunc_end19:
	.size	_ZL19rocblas_scal_kernelIlLi256EfffPfEviT3_lT4_lT_li, .Lfunc_end19-_ZL19rocblas_scal_kernelIlLi256EfffPfEviT3_lT4_lT_li
                                        ; -- End function
	.set _ZL19rocblas_scal_kernelIlLi256EfffPfEviT3_lT4_lT_li.num_vgpr, 5
	.set _ZL19rocblas_scal_kernelIlLi256EfffPfEviT3_lT4_lT_li.num_agpr, 0
	.set _ZL19rocblas_scal_kernelIlLi256EfffPfEviT3_lT4_lT_li.numbered_sgpr, 16
	.set _ZL19rocblas_scal_kernelIlLi256EfffPfEviT3_lT4_lT_li.num_named_barrier, 0
	.set _ZL19rocblas_scal_kernelIlLi256EfffPfEviT3_lT4_lT_li.private_seg_size, 0
	.set _ZL19rocblas_scal_kernelIlLi256EfffPfEviT3_lT4_lT_li.uses_vcc, 1
	.set _ZL19rocblas_scal_kernelIlLi256EfffPfEviT3_lT4_lT_li.uses_flat_scratch, 0
	.set _ZL19rocblas_scal_kernelIlLi256EfffPfEviT3_lT4_lT_li.has_dyn_sized_stack, 0
	.set _ZL19rocblas_scal_kernelIlLi256EfffPfEviT3_lT4_lT_li.has_recursion, 0
	.set _ZL19rocblas_scal_kernelIlLi256EfffPfEviT3_lT4_lT_li.has_indirect_call, 0
	.section	.AMDGPU.csdata,"",@progbits
; Kernel info:
; codeLenInByte = 276
; TotalNumSgprs: 18
; NumVgprs: 5
; ScratchSize: 0
; MemoryBound: 0
; FloatMode: 240
; IeeeMode: 1
; LDSByteSize: 0 bytes/workgroup (compile time only)
; SGPRBlocks: 0
; VGPRBlocks: 0
; NumSGPRsForWavesPerEU: 18
; NumVGPRsForWavesPerEU: 5
; NamedBarCnt: 0
; Occupancy: 16
; WaveLimiterHint : 0
; COMPUTE_PGM_RSRC2:SCRATCH_EN: 0
; COMPUTE_PGM_RSRC2:USER_SGPR: 2
; COMPUTE_PGM_RSRC2:TRAP_HANDLER: 0
; COMPUTE_PGM_RSRC2:TGID_X_EN: 1
; COMPUTE_PGM_RSRC2:TGID_Y_EN: 0
; COMPUTE_PGM_RSRC2:TGID_Z_EN: 1
; COMPUTE_PGM_RSRC2:TIDIG_COMP_CNT: 0
	.section	.text._ZL22rocblas_sscal_2_kernelILi256E19rocblas_complex_numIdES1_PKS1_PS1_EviT2_lT3_lli,"axG",@progbits,_ZL22rocblas_sscal_2_kernelILi256E19rocblas_complex_numIdES1_PKS1_PS1_EviT2_lT3_lli,comdat
	.globl	_ZL22rocblas_sscal_2_kernelILi256E19rocblas_complex_numIdES1_PKS1_PS1_EviT2_lT3_lli ; -- Begin function _ZL22rocblas_sscal_2_kernelILi256E19rocblas_complex_numIdES1_PKS1_PS1_EviT2_lT3_lli
	.p2align	8
	.type	_ZL22rocblas_sscal_2_kernelILi256E19rocblas_complex_numIdES1_PKS1_PS1_EviT2_lT3_lli,@function
_ZL22rocblas_sscal_2_kernelILi256E19rocblas_complex_numIdES1_PKS1_PS1_EviT2_lT3_lli: ; @_ZL22rocblas_sscal_2_kernelILi256E19rocblas_complex_numIdES1_PKS1_PS1_EviT2_lT3_lli
; %bb.0:
	s_load_b32 s16, s[0:1], 0x30
	s_bfe_u32 s2, ttmp6, 0x40014
	s_lshr_b32 s3, ttmp7, 16
	s_add_co_i32 s2, s2, 1
	s_bfe_u32 s4, ttmp6, 0x40008
	s_mul_i32 s2, s3, s2
	s_getreg_b32 s12, hwreg(HW_REG_IB_STS2, 6, 4)
	s_add_co_i32 s4, s4, s2
	s_cmp_eq_u32 s12, 0
	s_cselect_b32 s2, s3, s4
	s_mov_b32 s3, 0
	s_wait_kmcnt 0x0
	s_cmp_ge_u32 s2, s16
	s_cbranch_scc1 .LBB20_9
; %bb.1:
	s_clause 0x2
	s_load_b128 s[4:7], s[0:1], 0x20
	s_load_b32 s13, s[0:1], 0x0
	s_load_b64 s[14:15], s[0:1], 0x18
	s_bfe_u32 s17, ttmp6, 0x4000c
	s_load_b128 s[8:11], s[0:1], 0x8
	s_add_co_i32 s17, s17, 1
	s_wait_xcnt 0x0
	s_and_b32 s0, ttmp6, 15
	s_mul_i32 s1, ttmp9, s17
	v_lshlrev_b32_e32 v0, 1, v0
	s_add_co_i32 s0, s0, s1
	s_wait_kmcnt 0x0
	s_lshl_b64 s[4:5], s[4:5], 4
	s_cmp_eq_u32 s12, 0
	s_add_nc_u64 s[4:5], s[14:15], s[4:5]
	s_cselect_b32 s0, ttmp9, s0
	s_bitcmp1_b32 s13, 0
	v_lshl_or_b32 v0, s0, 9, v0
	s_cselect_b32 s1, -1, 0
	s_add_co_i32 s0, s13, -1
	s_delay_alu instid0(VALU_DEP_1) | instskip(SKIP_1) | instid1(VALU_DEP_2)
	v_or_b32_e32 v1, 1, v0
	v_cmp_eq_u32_e32 vcc_lo, s0, v0
	v_cmp_gt_u32_e64 s0, s13, v1
	v_mov_b32_e32 v1, 0
	s_and_b32 s1, s1, vcc_lo
	s_branch .LBB20_4
.LBB20_2:                               ;   in Loop: Header=BB20_4 Depth=1
	s_wait_xcnt 0x0
	s_or_b32 exec_lo, exec_lo, s17
.LBB20_3:                               ;   in Loop: Header=BB20_4 Depth=1
	s_add_co_i32 s2, s2, 0x10000
	s_delay_alu instid0(SALU_CYCLE_1)
	s_cmp_lt_u32 s2, s16
	s_cbranch_scc0 .LBB20_9
.LBB20_4:                               ; =>This Inner Loop Header: Depth=1
	s_mul_u64 s[12:13], s[10:11], s[2:3]
	s_delay_alu instid0(SALU_CYCLE_1) | instskip(NEXT) | instid1(SALU_CYCLE_1)
	s_lshl_b64 s[12:13], s[12:13], 4
	s_add_nc_u64 s[18:19], s[8:9], s[12:13]
	s_load_b128 s[12:15], s[18:19], 0x0
	s_wait_kmcnt 0x0
	v_cmp_neq_f64_e64 s17, s[12:13], 1.0
	s_wait_xcnt 0x0
	v_cmp_neq_f64_e64 s18, s[14:15], 0
	s_or_b32 s17, s17, s18
	s_delay_alu instid0(SALU_CYCLE_1)
	s_and_not1_b32 vcc_lo, exec_lo, s17
	s_cbranch_vccnz .LBB20_3
; %bb.5:                                ;   in Loop: Header=BB20_4 Depth=1
	s_mul_u64 s[18:19], s[6:7], s[2:3]
	s_delay_alu instid0(SALU_CYCLE_1) | instskip(NEXT) | instid1(SALU_CYCLE_1)
	s_lshl_b64 s[18:19], s[18:19], 4
	s_add_nc_u64 s[18:19], s[4:5], s[18:19]
	s_delay_alu instid0(SALU_CYCLE_1)
	v_lshl_add_u64 v[2:3], v[0:1], 4, s[18:19]
	s_and_saveexec_b32 s17, s0
	s_cbranch_execz .LBB20_7
; %bb.6:                                ;   in Loop: Header=BB20_4 Depth=1
	s_clause 0x1
	global_load_b128 v[4:7], v[2:3], off
	global_load_b128 v[8:11], v[2:3], off offset:16
	s_wait_loadcnt 0x1
	v_mul_f64_e32 v[14:15], s[14:15], v[6:7]
	v_mul_f64_e32 v[12:13], s[12:13], v[6:7]
	s_wait_loadcnt 0x0
	v_mul_f64_e32 v[16:17], s[14:15], v[10:11]
	v_mul_f64_e32 v[6:7], s[12:13], v[10:11]
	s_delay_alu instid0(VALU_DEP_4) | instskip(NEXT) | instid1(VALU_DEP_4)
	v_fma_f64 v[10:11], s[12:13], v[4:5], -v[14:15]
	v_fmac_f64_e32 v[12:13], s[14:15], v[4:5]
	s_delay_alu instid0(VALU_DEP_4) | instskip(NEXT) | instid1(VALU_DEP_4)
	v_fma_f64 v[4:5], s[12:13], v[8:9], -v[16:17]
	v_fmac_f64_e32 v[6:7], s[14:15], v[8:9]
	s_clause 0x1
	global_store_b128 v[2:3], v[10:13], off
	global_store_b128 v[2:3], v[4:7], off offset:16
.LBB20_7:                               ;   in Loop: Header=BB20_4 Depth=1
	s_wait_xcnt 0x0
	s_or_b32 exec_lo, exec_lo, s17
	s_and_saveexec_b32 s17, s1
	s_cbranch_execz .LBB20_2
; %bb.8:                                ;   in Loop: Header=BB20_4 Depth=1
	global_load_b128 v[4:7], v[2:3], off
	s_wait_loadcnt 0x0
	v_mul_f64_e32 v[10:11], s[14:15], v[6:7]
	v_mul_f64_e32 v[8:9], s[12:13], v[6:7]
	s_delay_alu instid0(VALU_DEP_2) | instskip(NEXT) | instid1(VALU_DEP_2)
	v_fma_f64 v[6:7], s[12:13], v[4:5], -v[10:11]
	v_fmac_f64_e32 v[8:9], s[14:15], v[4:5]
	global_store_b128 v[2:3], v[6:9], off
	s_branch .LBB20_2
.LBB20_9:
	s_endpgm
	.section	.rodata,"a",@progbits
	.p2align	6, 0x0
	.amdhsa_kernel _ZL22rocblas_sscal_2_kernelILi256E19rocblas_complex_numIdES1_PKS1_PS1_EviT2_lT3_lli
		.amdhsa_group_segment_fixed_size 0
		.amdhsa_private_segment_fixed_size 0
		.amdhsa_kernarg_size 52
		.amdhsa_user_sgpr_count 2
		.amdhsa_user_sgpr_dispatch_ptr 0
		.amdhsa_user_sgpr_queue_ptr 0
		.amdhsa_user_sgpr_kernarg_segment_ptr 1
		.amdhsa_user_sgpr_dispatch_id 0
		.amdhsa_user_sgpr_kernarg_preload_length 0
		.amdhsa_user_sgpr_kernarg_preload_offset 0
		.amdhsa_user_sgpr_private_segment_size 0
		.amdhsa_wavefront_size32 1
		.amdhsa_uses_dynamic_stack 0
		.amdhsa_enable_private_segment 0
		.amdhsa_system_sgpr_workgroup_id_x 1
		.amdhsa_system_sgpr_workgroup_id_y 0
		.amdhsa_system_sgpr_workgroup_id_z 1
		.amdhsa_system_sgpr_workgroup_info 0
		.amdhsa_system_vgpr_workitem_id 0
		.amdhsa_next_free_vgpr 18
		.amdhsa_next_free_sgpr 20
		.amdhsa_named_barrier_count 0
		.amdhsa_reserve_vcc 1
		.amdhsa_float_round_mode_32 0
		.amdhsa_float_round_mode_16_64 0
		.amdhsa_float_denorm_mode_32 3
		.amdhsa_float_denorm_mode_16_64 3
		.amdhsa_fp16_overflow 0
		.amdhsa_memory_ordered 1
		.amdhsa_forward_progress 1
		.amdhsa_inst_pref_size 5
		.amdhsa_round_robin_scheduling 0
		.amdhsa_exception_fp_ieee_invalid_op 0
		.amdhsa_exception_fp_denorm_src 0
		.amdhsa_exception_fp_ieee_div_zero 0
		.amdhsa_exception_fp_ieee_overflow 0
		.amdhsa_exception_fp_ieee_underflow 0
		.amdhsa_exception_fp_ieee_inexact 0
		.amdhsa_exception_int_div_zero 0
	.end_amdhsa_kernel
	.section	.text._ZL22rocblas_sscal_2_kernelILi256E19rocblas_complex_numIdES1_PKS1_PS1_EviT2_lT3_lli,"axG",@progbits,_ZL22rocblas_sscal_2_kernelILi256E19rocblas_complex_numIdES1_PKS1_PS1_EviT2_lT3_lli,comdat
.Lfunc_end20:
	.size	_ZL22rocblas_sscal_2_kernelILi256E19rocblas_complex_numIdES1_PKS1_PS1_EviT2_lT3_lli, .Lfunc_end20-_ZL22rocblas_sscal_2_kernelILi256E19rocblas_complex_numIdES1_PKS1_PS1_EviT2_lT3_lli
                                        ; -- End function
	.set _ZL22rocblas_sscal_2_kernelILi256E19rocblas_complex_numIdES1_PKS1_PS1_EviT2_lT3_lli.num_vgpr, 18
	.set _ZL22rocblas_sscal_2_kernelILi256E19rocblas_complex_numIdES1_PKS1_PS1_EviT2_lT3_lli.num_agpr, 0
	.set _ZL22rocblas_sscal_2_kernelILi256E19rocblas_complex_numIdES1_PKS1_PS1_EviT2_lT3_lli.numbered_sgpr, 20
	.set _ZL22rocblas_sscal_2_kernelILi256E19rocblas_complex_numIdES1_PKS1_PS1_EviT2_lT3_lli.num_named_barrier, 0
	.set _ZL22rocblas_sscal_2_kernelILi256E19rocblas_complex_numIdES1_PKS1_PS1_EviT2_lT3_lli.private_seg_size, 0
	.set _ZL22rocblas_sscal_2_kernelILi256E19rocblas_complex_numIdES1_PKS1_PS1_EviT2_lT3_lli.uses_vcc, 1
	.set _ZL22rocblas_sscal_2_kernelILi256E19rocblas_complex_numIdES1_PKS1_PS1_EviT2_lT3_lli.uses_flat_scratch, 0
	.set _ZL22rocblas_sscal_2_kernelILi256E19rocblas_complex_numIdES1_PKS1_PS1_EviT2_lT3_lli.has_dyn_sized_stack, 0
	.set _ZL22rocblas_sscal_2_kernelILi256E19rocblas_complex_numIdES1_PKS1_PS1_EviT2_lT3_lli.has_recursion, 0
	.set _ZL22rocblas_sscal_2_kernelILi256E19rocblas_complex_numIdES1_PKS1_PS1_EviT2_lT3_lli.has_indirect_call, 0
	.section	.AMDGPU.csdata,"",@progbits
; Kernel info:
; codeLenInByte = 524
; TotalNumSgprs: 22
; NumVgprs: 18
; ScratchSize: 0
; MemoryBound: 0
; FloatMode: 240
; IeeeMode: 1
; LDSByteSize: 0 bytes/workgroup (compile time only)
; SGPRBlocks: 0
; VGPRBlocks: 1
; NumSGPRsForWavesPerEU: 22
; NumVGPRsForWavesPerEU: 18
; NamedBarCnt: 0
; Occupancy: 16
; WaveLimiterHint : 0
; COMPUTE_PGM_RSRC2:SCRATCH_EN: 0
; COMPUTE_PGM_RSRC2:USER_SGPR: 2
; COMPUTE_PGM_RSRC2:TRAP_HANDLER: 0
; COMPUTE_PGM_RSRC2:TGID_X_EN: 1
; COMPUTE_PGM_RSRC2:TGID_Y_EN: 0
; COMPUTE_PGM_RSRC2:TGID_Z_EN: 1
; COMPUTE_PGM_RSRC2:TIDIG_COMP_CNT: 0
	.section	.text._ZL22rocblas_sscal_2_kernelILi256E19rocblas_complex_numIdES1_S1_PS1_EviT2_lT3_lli,"axG",@progbits,_ZL22rocblas_sscal_2_kernelILi256E19rocblas_complex_numIdES1_S1_PS1_EviT2_lT3_lli,comdat
	.globl	_ZL22rocblas_sscal_2_kernelILi256E19rocblas_complex_numIdES1_S1_PS1_EviT2_lT3_lli ; -- Begin function _ZL22rocblas_sscal_2_kernelILi256E19rocblas_complex_numIdES1_S1_PS1_EviT2_lT3_lli
	.p2align	8
	.type	_ZL22rocblas_sscal_2_kernelILi256E19rocblas_complex_numIdES1_S1_PS1_EviT2_lT3_lli,@function
_ZL22rocblas_sscal_2_kernelILi256E19rocblas_complex_numIdES1_S1_PS1_EviT2_lT3_lli: ; @_ZL22rocblas_sscal_2_kernelILi256E19rocblas_complex_numIdES1_S1_PS1_EviT2_lT3_lli
; %bb.0:
	s_load_b32 s12, s[0:1], 0x38
	s_bfe_u32 s2, ttmp6, 0x40014
	s_lshr_b32 s3, ttmp7, 16
	s_add_co_i32 s2, s2, 1
	s_bfe_u32 s4, ttmp6, 0x40008
	s_mul_i32 s2, s3, s2
	s_getreg_b32 s13, hwreg(HW_REG_IB_STS2, 6, 4)
	s_add_co_i32 s4, s4, s2
	s_cmp_eq_u32 s13, 0
	s_cselect_b32 s2, s3, s4
	s_mov_b32 s3, 0
	s_wait_kmcnt 0x0
	s_cmp_ge_u32 s2, s12
	s_cbranch_scc1 .LBB21_9
; %bb.1:
	s_clause 0x3
	s_load_b128 s[4:7], s[0:1], 0x8
	s_load_b64 s[14:15], s[0:1], 0x20
	s_load_b128 s[8:11], s[0:1], 0x28
	s_load_b32 s18, s[0:1], 0x0
	s_bfe_u32 s19, ttmp6, 0x4000c
	s_wait_xcnt 0x0
	s_and_b32 s0, ttmp6, 15
	s_add_co_i32 s19, s19, 1
	v_lshlrev_b32_e32 v0, 1, v0
	s_mul_i32 s1, ttmp9, s19
	s_delay_alu instid0(SALU_CYCLE_1)
	s_add_co_i32 s0, s0, s1
	s_wait_kmcnt 0x0
	v_cmp_neq_f64_e64 s16, s[4:5], 1.0
	v_cmp_neq_f64_e64 s17, s[6:7], 0
	s_lshl_b64 s[8:9], s[8:9], 4
	s_cmp_eq_u32 s13, 0
	s_add_nc_u64 s[8:9], s[14:15], s[8:9]
	s_cselect_b32 s0, ttmp9, s0
	s_delay_alu instid0(SALU_CYCLE_1) | instskip(NEXT) | instid1(VALU_DEP_1)
	v_lshl_or_b32 v0, s0, 9, v0
	v_or_b32_e32 v1, 1, v0
	s_delay_alu instid0(VALU_DEP_1)
	v_cmp_gt_u32_e64 s0, s18, v1
	v_mov_b32_e32 v1, 0
	s_or_b32 s1, s16, s17
	s_bitcmp1_b32 s18, 0
	s_cselect_b32 s13, -1, 0
	s_add_co_i32 s16, s18, -1
	s_delay_alu instid0(SALU_CYCLE_1)
	v_cmp_eq_u32_e32 vcc_lo, s16, v0
	s_and_b32 s13, s13, vcc_lo
	s_branch .LBB21_4
.LBB21_2:                               ;   in Loop: Header=BB21_4 Depth=1
	s_wait_xcnt 0x0
	s_or_b32 exec_lo, exec_lo, s14
.LBB21_3:                               ;   in Loop: Header=BB21_4 Depth=1
	s_add_co_i32 s2, s2, 0x10000
	s_delay_alu instid0(SALU_CYCLE_1)
	s_cmp_lt_u32 s2, s12
	s_cbranch_scc0 .LBB21_9
.LBB21_4:                               ; =>This Inner Loop Header: Depth=1
	s_and_not1_b32 vcc_lo, exec_lo, s1
	s_cbranch_vccnz .LBB21_3
; %bb.5:                                ;   in Loop: Header=BB21_4 Depth=1
	s_mul_u64 s[14:15], s[10:11], s[2:3]
	s_delay_alu instid0(SALU_CYCLE_1) | instskip(NEXT) | instid1(SALU_CYCLE_1)
	s_lshl_b64 s[14:15], s[14:15], 4
	s_add_nc_u64 s[14:15], s[8:9], s[14:15]
	s_delay_alu instid0(SALU_CYCLE_1)
	v_lshl_add_u64 v[2:3], v[0:1], 4, s[14:15]
	s_and_saveexec_b32 s14, s0
	s_cbranch_execz .LBB21_7
; %bb.6:                                ;   in Loop: Header=BB21_4 Depth=1
	s_clause 0x1
	global_load_b128 v[4:7], v[2:3], off
	global_load_b128 v[8:11], v[2:3], off offset:16
	s_wait_loadcnt 0x1
	v_mul_f64_e32 v[14:15], s[6:7], v[6:7]
	v_mul_f64_e32 v[12:13], s[4:5], v[6:7]
	s_wait_loadcnt 0x0
	v_mul_f64_e32 v[16:17], s[6:7], v[10:11]
	v_mul_f64_e32 v[6:7], s[4:5], v[10:11]
	s_delay_alu instid0(VALU_DEP_4) | instskip(NEXT) | instid1(VALU_DEP_4)
	v_fma_f64 v[10:11], s[4:5], v[4:5], -v[14:15]
	v_fmac_f64_e32 v[12:13], s[6:7], v[4:5]
	s_delay_alu instid0(VALU_DEP_4) | instskip(NEXT) | instid1(VALU_DEP_4)
	v_fma_f64 v[4:5], s[4:5], v[8:9], -v[16:17]
	v_fmac_f64_e32 v[6:7], s[6:7], v[8:9]
	s_clause 0x1
	global_store_b128 v[2:3], v[10:13], off
	global_store_b128 v[2:3], v[4:7], off offset:16
.LBB21_7:                               ;   in Loop: Header=BB21_4 Depth=1
	s_wait_xcnt 0x0
	s_or_b32 exec_lo, exec_lo, s14
	s_and_saveexec_b32 s14, s13
	s_cbranch_execz .LBB21_2
; %bb.8:                                ;   in Loop: Header=BB21_4 Depth=1
	global_load_b128 v[4:7], v[2:3], off
	s_wait_loadcnt 0x0
	v_mul_f64_e32 v[10:11], s[6:7], v[6:7]
	v_mul_f64_e32 v[8:9], s[4:5], v[6:7]
	s_delay_alu instid0(VALU_DEP_2) | instskip(NEXT) | instid1(VALU_DEP_2)
	v_fma_f64 v[6:7], s[4:5], v[4:5], -v[10:11]
	v_fmac_f64_e32 v[8:9], s[6:7], v[4:5]
	global_store_b128 v[2:3], v[6:9], off
	s_branch .LBB21_2
.LBB21_9:
	s_endpgm
	.section	.rodata,"a",@progbits
	.p2align	6, 0x0
	.amdhsa_kernel _ZL22rocblas_sscal_2_kernelILi256E19rocblas_complex_numIdES1_S1_PS1_EviT2_lT3_lli
		.amdhsa_group_segment_fixed_size 0
		.amdhsa_private_segment_fixed_size 0
		.amdhsa_kernarg_size 60
		.amdhsa_user_sgpr_count 2
		.amdhsa_user_sgpr_dispatch_ptr 0
		.amdhsa_user_sgpr_queue_ptr 0
		.amdhsa_user_sgpr_kernarg_segment_ptr 1
		.amdhsa_user_sgpr_dispatch_id 0
		.amdhsa_user_sgpr_kernarg_preload_length 0
		.amdhsa_user_sgpr_kernarg_preload_offset 0
		.amdhsa_user_sgpr_private_segment_size 0
		.amdhsa_wavefront_size32 1
		.amdhsa_uses_dynamic_stack 0
		.amdhsa_enable_private_segment 0
		.amdhsa_system_sgpr_workgroup_id_x 1
		.amdhsa_system_sgpr_workgroup_id_y 0
		.amdhsa_system_sgpr_workgroup_id_z 1
		.amdhsa_system_sgpr_workgroup_info 0
		.amdhsa_system_vgpr_workitem_id 0
		.amdhsa_next_free_vgpr 18
		.amdhsa_next_free_sgpr 20
		.amdhsa_named_barrier_count 0
		.amdhsa_reserve_vcc 1
		.amdhsa_float_round_mode_32 0
		.amdhsa_float_round_mode_16_64 0
		.amdhsa_float_denorm_mode_32 3
		.amdhsa_float_denorm_mode_16_64 3
		.amdhsa_fp16_overflow 0
		.amdhsa_memory_ordered 1
		.amdhsa_forward_progress 1
		.amdhsa_inst_pref_size 4
		.amdhsa_round_robin_scheduling 0
		.amdhsa_exception_fp_ieee_invalid_op 0
		.amdhsa_exception_fp_denorm_src 0
		.amdhsa_exception_fp_ieee_div_zero 0
		.amdhsa_exception_fp_ieee_overflow 0
		.amdhsa_exception_fp_ieee_underflow 0
		.amdhsa_exception_fp_ieee_inexact 0
		.amdhsa_exception_int_div_zero 0
	.end_amdhsa_kernel
	.section	.text._ZL22rocblas_sscal_2_kernelILi256E19rocblas_complex_numIdES1_S1_PS1_EviT2_lT3_lli,"axG",@progbits,_ZL22rocblas_sscal_2_kernelILi256E19rocblas_complex_numIdES1_S1_PS1_EviT2_lT3_lli,comdat
.Lfunc_end21:
	.size	_ZL22rocblas_sscal_2_kernelILi256E19rocblas_complex_numIdES1_S1_PS1_EviT2_lT3_lli, .Lfunc_end21-_ZL22rocblas_sscal_2_kernelILi256E19rocblas_complex_numIdES1_S1_PS1_EviT2_lT3_lli
                                        ; -- End function
	.set _ZL22rocblas_sscal_2_kernelILi256E19rocblas_complex_numIdES1_S1_PS1_EviT2_lT3_lli.num_vgpr, 18
	.set _ZL22rocblas_sscal_2_kernelILi256E19rocblas_complex_numIdES1_S1_PS1_EviT2_lT3_lli.num_agpr, 0
	.set _ZL22rocblas_sscal_2_kernelILi256E19rocblas_complex_numIdES1_S1_PS1_EviT2_lT3_lli.numbered_sgpr, 20
	.set _ZL22rocblas_sscal_2_kernelILi256E19rocblas_complex_numIdES1_S1_PS1_EviT2_lT3_lli.num_named_barrier, 0
	.set _ZL22rocblas_sscal_2_kernelILi256E19rocblas_complex_numIdES1_S1_PS1_EviT2_lT3_lli.private_seg_size, 0
	.set _ZL22rocblas_sscal_2_kernelILi256E19rocblas_complex_numIdES1_S1_PS1_EviT2_lT3_lli.uses_vcc, 1
	.set _ZL22rocblas_sscal_2_kernelILi256E19rocblas_complex_numIdES1_S1_PS1_EviT2_lT3_lli.uses_flat_scratch, 0
	.set _ZL22rocblas_sscal_2_kernelILi256E19rocblas_complex_numIdES1_S1_PS1_EviT2_lT3_lli.has_dyn_sized_stack, 0
	.set _ZL22rocblas_sscal_2_kernelILi256E19rocblas_complex_numIdES1_S1_PS1_EviT2_lT3_lli.has_recursion, 0
	.set _ZL22rocblas_sscal_2_kernelILi256E19rocblas_complex_numIdES1_S1_PS1_EviT2_lT3_lli.has_indirect_call, 0
	.section	.AMDGPU.csdata,"",@progbits
; Kernel info:
; codeLenInByte = 500
; TotalNumSgprs: 22
; NumVgprs: 18
; ScratchSize: 0
; MemoryBound: 0
; FloatMode: 240
; IeeeMode: 1
; LDSByteSize: 0 bytes/workgroup (compile time only)
; SGPRBlocks: 0
; VGPRBlocks: 1
; NumSGPRsForWavesPerEU: 22
; NumVGPRsForWavesPerEU: 18
; NamedBarCnt: 0
; Occupancy: 16
; WaveLimiterHint : 0
; COMPUTE_PGM_RSRC2:SCRATCH_EN: 0
; COMPUTE_PGM_RSRC2:USER_SGPR: 2
; COMPUTE_PGM_RSRC2:TRAP_HANDLER: 0
; COMPUTE_PGM_RSRC2:TGID_X_EN: 1
; COMPUTE_PGM_RSRC2:TGID_Y_EN: 0
; COMPUTE_PGM_RSRC2:TGID_Z_EN: 1
; COMPUTE_PGM_RSRC2:TIDIG_COMP_CNT: 0
	.section	.text._ZL19rocblas_scal_kernelIiLi256E19rocblas_complex_numIdES1_PKS1_PS1_EviT3_lT4_lT_li,"axG",@progbits,_ZL19rocblas_scal_kernelIiLi256E19rocblas_complex_numIdES1_PKS1_PS1_EviT3_lT4_lT_li,comdat
	.globl	_ZL19rocblas_scal_kernelIiLi256E19rocblas_complex_numIdES1_PKS1_PS1_EviT3_lT4_lT_li ; -- Begin function _ZL19rocblas_scal_kernelIiLi256E19rocblas_complex_numIdES1_PKS1_PS1_EviT3_lT4_lT_li
	.p2align	8
	.type	_ZL19rocblas_scal_kernelIiLi256E19rocblas_complex_numIdES1_PKS1_PS1_EviT3_lT4_lT_li,@function
_ZL19rocblas_scal_kernelIiLi256E19rocblas_complex_numIdES1_PKS1_PS1_EviT3_lT4_lT_li: ; @_ZL19rocblas_scal_kernelIiLi256E19rocblas_complex_numIdES1_PKS1_PS1_EviT3_lT4_lT_li
; %bb.0:
	s_load_b32 s14, s[0:1], 0x38
	s_bfe_u32 s2, ttmp6, 0x40014
	s_lshr_b32 s3, ttmp7, 16
	s_add_co_i32 s2, s2, 1
	s_bfe_u32 s4, ttmp6, 0x40008
	s_mul_i32 s2, s3, s2
	s_getreg_b32 s15, hwreg(HW_REG_IB_STS2, 6, 4)
	s_add_co_i32 s4, s4, s2
	s_cmp_eq_u32 s15, 0
	s_cselect_b32 s2, s3, s4
	s_mov_b32 s3, 0
	s_wait_kmcnt 0x0
	s_cmp_ge_u32 s2, s14
	s_cbranch_scc1 .LBB22_5
; %bb.1:
	s_clause 0x1
	s_load_b32 s16, s[0:1], 0x28
	s_load_b256 s[4:11], s[0:1], 0x8
	s_bfe_u32 s12, ttmp6, 0x4000c
	s_and_b32 s17, ttmp6, 15
	s_add_co_i32 s12, s12, 1
	v_mov_b32_e32 v5, 0
	s_mul_i32 s18, ttmp9, s12
	s_load_b64 s[12:13], s[0:1], 0x30
	s_add_co_i32 s18, s17, s18
	s_wait_kmcnt 0x0
	s_ashr_i32 s17, s16, 31
	s_lshl_b64 s[10:11], s[10:11], 4
	s_cmp_eq_u32 s15, 0
	s_cselect_b32 s15, ttmp9, s18
	s_delay_alu instid0(SALU_CYCLE_1) | instskip(SKIP_3) | instid1(VALU_DEP_1)
	v_lshl_or_b32 v4, s15, 8, v0
	s_load_b32 s15, s[0:1], 0x0
	s_wait_xcnt 0x0
	s_add_nc_u64 s[0:1], s[8:9], s[10:11]
	v_mul_u64_e32 v[0:1], s[16:17], v[4:5]
	s_wait_kmcnt 0x0
	v_cmp_gt_u32_e32 vcc_lo, s15, v4
	s_delay_alu instid0(VALU_DEP_2)
	v_lshl_add_u64 v[6:7], v[0:1], 4, s[0:1]
	s_branch .LBB22_3
.LBB22_2:                               ;   in Loop: Header=BB22_3 Depth=1
	s_wait_xcnt 0x0
	s_or_b32 exec_lo, exec_lo, s0
	s_add_co_i32 s2, s2, 0x10000
	s_delay_alu instid0(SALU_CYCLE_1)
	s_cmp_lt_u32 s2, s14
	s_cbranch_scc0 .LBB22_5
.LBB22_3:                               ; =>This Inner Loop Header: Depth=1
	s_mul_u64 s[0:1], s[6:7], s[2:3]
	s_delay_alu instid0(SALU_CYCLE_1) | instskip(NEXT) | instid1(SALU_CYCLE_1)
	s_lshl_b64 s[0:1], s[0:1], 4
	s_add_nc_u64 s[0:1], s[4:5], s[0:1]
	global_load_b128 v[0:3], v5, s[0:1]
	s_wait_loadcnt 0x0
	s_wait_xcnt 0x0
	v_cmp_neq_f64_e64 s0, 1.0, v[0:1]
	v_cmp_neq_f64_e64 s1, 0, v[2:3]
	s_or_b32 s0, s0, s1
	s_delay_alu instid0(SALU_CYCLE_1) | instskip(NEXT) | instid1(SALU_CYCLE_1)
	s_and_b32 s1, vcc_lo, s0
	s_and_saveexec_b32 s0, s1
	s_cbranch_execz .LBB22_2
; %bb.4:                                ;   in Loop: Header=BB22_3 Depth=1
	s_mul_u64 s[8:9], s[12:13], s[2:3]
	s_delay_alu instid0(SALU_CYCLE_1) | instskip(SKIP_4) | instid1(VALU_DEP_2)
	v_lshl_add_u64 v[14:15], s[8:9], 4, v[6:7]
	global_load_b128 v[8:11], v[14:15], off
	s_wait_loadcnt 0x0
	v_mul_f64_e32 v[16:17], v[2:3], v[10:11]
	v_mul_f64_e32 v[12:13], v[0:1], v[10:11]
	v_fma_f64 v[10:11], v[0:1], v[8:9], -v[16:17]
	s_delay_alu instid0(VALU_DEP_2)
	v_fmac_f64_e32 v[12:13], v[2:3], v[8:9]
	global_store_b128 v[14:15], v[10:13], off
	s_branch .LBB22_2
.LBB22_5:
	s_endpgm
	.section	.rodata,"a",@progbits
	.p2align	6, 0x0
	.amdhsa_kernel _ZL19rocblas_scal_kernelIiLi256E19rocblas_complex_numIdES1_PKS1_PS1_EviT3_lT4_lT_li
		.amdhsa_group_segment_fixed_size 0
		.amdhsa_private_segment_fixed_size 0
		.amdhsa_kernarg_size 60
		.amdhsa_user_sgpr_count 2
		.amdhsa_user_sgpr_dispatch_ptr 0
		.amdhsa_user_sgpr_queue_ptr 0
		.amdhsa_user_sgpr_kernarg_segment_ptr 1
		.amdhsa_user_sgpr_dispatch_id 0
		.amdhsa_user_sgpr_kernarg_preload_length 0
		.amdhsa_user_sgpr_kernarg_preload_offset 0
		.amdhsa_user_sgpr_private_segment_size 0
		.amdhsa_wavefront_size32 1
		.amdhsa_uses_dynamic_stack 0
		.amdhsa_enable_private_segment 0
		.amdhsa_system_sgpr_workgroup_id_x 1
		.amdhsa_system_sgpr_workgroup_id_y 0
		.amdhsa_system_sgpr_workgroup_id_z 1
		.amdhsa_system_sgpr_workgroup_info 0
		.amdhsa_system_vgpr_workitem_id 0
		.amdhsa_next_free_vgpr 18
		.amdhsa_next_free_sgpr 19
		.amdhsa_named_barrier_count 0
		.amdhsa_reserve_vcc 1
		.amdhsa_float_round_mode_32 0
		.amdhsa_float_round_mode_16_64 0
		.amdhsa_float_denorm_mode_32 3
		.amdhsa_float_denorm_mode_16_64 3
		.amdhsa_fp16_overflow 0
		.amdhsa_memory_ordered 1
		.amdhsa_forward_progress 1
		.amdhsa_inst_pref_size 3
		.amdhsa_round_robin_scheduling 0
		.amdhsa_exception_fp_ieee_invalid_op 0
		.amdhsa_exception_fp_denorm_src 0
		.amdhsa_exception_fp_ieee_div_zero 0
		.amdhsa_exception_fp_ieee_overflow 0
		.amdhsa_exception_fp_ieee_underflow 0
		.amdhsa_exception_fp_ieee_inexact 0
		.amdhsa_exception_int_div_zero 0
	.end_amdhsa_kernel
	.section	.text._ZL19rocblas_scal_kernelIiLi256E19rocblas_complex_numIdES1_PKS1_PS1_EviT3_lT4_lT_li,"axG",@progbits,_ZL19rocblas_scal_kernelIiLi256E19rocblas_complex_numIdES1_PKS1_PS1_EviT3_lT4_lT_li,comdat
.Lfunc_end22:
	.size	_ZL19rocblas_scal_kernelIiLi256E19rocblas_complex_numIdES1_PKS1_PS1_EviT3_lT4_lT_li, .Lfunc_end22-_ZL19rocblas_scal_kernelIiLi256E19rocblas_complex_numIdES1_PKS1_PS1_EviT3_lT4_lT_li
                                        ; -- End function
	.set _ZL19rocblas_scal_kernelIiLi256E19rocblas_complex_numIdES1_PKS1_PS1_EviT3_lT4_lT_li.num_vgpr, 18
	.set _ZL19rocblas_scal_kernelIiLi256E19rocblas_complex_numIdES1_PKS1_PS1_EviT3_lT4_lT_li.num_agpr, 0
	.set _ZL19rocblas_scal_kernelIiLi256E19rocblas_complex_numIdES1_PKS1_PS1_EviT3_lT4_lT_li.numbered_sgpr, 19
	.set _ZL19rocblas_scal_kernelIiLi256E19rocblas_complex_numIdES1_PKS1_PS1_EviT3_lT4_lT_li.num_named_barrier, 0
	.set _ZL19rocblas_scal_kernelIiLi256E19rocblas_complex_numIdES1_PKS1_PS1_EviT3_lT4_lT_li.private_seg_size, 0
	.set _ZL19rocblas_scal_kernelIiLi256E19rocblas_complex_numIdES1_PKS1_PS1_EviT3_lT4_lT_li.uses_vcc, 1
	.set _ZL19rocblas_scal_kernelIiLi256E19rocblas_complex_numIdES1_PKS1_PS1_EviT3_lT4_lT_li.uses_flat_scratch, 0
	.set _ZL19rocblas_scal_kernelIiLi256E19rocblas_complex_numIdES1_PKS1_PS1_EviT3_lT4_lT_li.has_dyn_sized_stack, 0
	.set _ZL19rocblas_scal_kernelIiLi256E19rocblas_complex_numIdES1_PKS1_PS1_EviT3_lT4_lT_li.has_recursion, 0
	.set _ZL19rocblas_scal_kernelIiLi256E19rocblas_complex_numIdES1_PKS1_PS1_EviT3_lT4_lT_li.has_indirect_call, 0
	.section	.AMDGPU.csdata,"",@progbits
; Kernel info:
; codeLenInByte = 376
; TotalNumSgprs: 21
; NumVgprs: 18
; ScratchSize: 0
; MemoryBound: 0
; FloatMode: 240
; IeeeMode: 1
; LDSByteSize: 0 bytes/workgroup (compile time only)
; SGPRBlocks: 0
; VGPRBlocks: 1
; NumSGPRsForWavesPerEU: 21
; NumVGPRsForWavesPerEU: 18
; NamedBarCnt: 0
; Occupancy: 16
; WaveLimiterHint : 0
; COMPUTE_PGM_RSRC2:SCRATCH_EN: 0
; COMPUTE_PGM_RSRC2:USER_SGPR: 2
; COMPUTE_PGM_RSRC2:TRAP_HANDLER: 0
; COMPUTE_PGM_RSRC2:TGID_X_EN: 1
; COMPUTE_PGM_RSRC2:TGID_Y_EN: 0
; COMPUTE_PGM_RSRC2:TGID_Z_EN: 1
; COMPUTE_PGM_RSRC2:TIDIG_COMP_CNT: 0
	.section	.text._ZL19rocblas_scal_kernelIiLi256E19rocblas_complex_numIdES1_S1_PS1_EviT3_lT4_lT_li,"axG",@progbits,_ZL19rocblas_scal_kernelIiLi256E19rocblas_complex_numIdES1_S1_PS1_EviT3_lT4_lT_li,comdat
	.globl	_ZL19rocblas_scal_kernelIiLi256E19rocblas_complex_numIdES1_S1_PS1_EviT3_lT4_lT_li ; -- Begin function _ZL19rocblas_scal_kernelIiLi256E19rocblas_complex_numIdES1_S1_PS1_EviT3_lT4_lT_li
	.p2align	8
	.type	_ZL19rocblas_scal_kernelIiLi256E19rocblas_complex_numIdES1_S1_PS1_EviT3_lT4_lT_li,@function
_ZL19rocblas_scal_kernelIiLi256E19rocblas_complex_numIdES1_S1_PS1_EviT3_lT4_lT_li: ; @_ZL19rocblas_scal_kernelIiLi256E19rocblas_complex_numIdES1_S1_PS1_EviT3_lT4_lT_li
; %bb.0:
	s_load_b32 s10, s[0:1], 0x40
	s_bfe_u32 s2, ttmp6, 0x40014
	s_lshr_b32 s3, ttmp7, 16
	s_add_co_i32 s2, s2, 1
	s_bfe_u32 s4, ttmp6, 0x40008
	s_mul_i32 s2, s3, s2
	s_getreg_b32 s8, hwreg(HW_REG_IB_STS2, 6, 4)
	s_add_co_i32 s4, s4, s2
	s_cmp_eq_u32 s8, 0
	s_cselect_b32 s2, s3, s4
	s_mov_b32 s3, 0
	s_wait_kmcnt 0x0
	s_cmp_ge_u32 s2, s10
	s_cbranch_scc1 .LBB23_5
; %bb.1:
	s_clause 0x2
	s_load_b32 s16, s[0:1], 0x30
	s_load_b128 s[12:15], s[0:1], 0x20
	s_load_b128 s[4:7], s[0:1], 0x8
	s_bfe_u32 s9, ttmp6, 0x4000c
	s_and_b32 s11, ttmp6, 15
	s_add_co_i32 s9, s9, 1
	v_mov_b32_e32 v1, 0
	s_mul_i32 s9, ttmp9, s9
	s_delay_alu instid0(SALU_CYCLE_1)
	s_add_co_i32 s11, s11, s9
	s_wait_kmcnt 0x0
	s_ashr_i32 s17, s16, 31
	s_lshl_b64 s[14:15], s[14:15], 4
	s_cmp_eq_u32 s8, 0
	s_cselect_b32 s8, ttmp9, s11
	v_cmp_neq_f64_e64 s11, s[4:5], 1.0
	v_lshl_or_b32 v0, s8, 8, v0
	s_delay_alu instid0(VALU_DEP_1)
	v_mul_u64_e32 v[2:3], s[16:17], v[0:1]
	v_cmp_neq_f64_e64 s16, s[6:7], 0
	s_clause 0x1
	s_load_b32 s17, s[0:1], 0x0
	s_load_b64 s[8:9], s[0:1], 0x38
	s_wait_xcnt 0x0
	s_add_nc_u64 s[0:1], s[12:13], s[14:15]
	s_wait_kmcnt 0x0
	v_cmp_gt_u32_e32 vcc_lo, s17, v0
	v_lshl_add_u64 v[0:1], v[2:3], 4, s[0:1]
	s_or_b32 s0, s11, s16
	s_delay_alu instid0(SALU_CYCLE_1)
	s_and_b32 s0, vcc_lo, s0
	s_branch .LBB23_3
.LBB23_2:                               ;   in Loop: Header=BB23_3 Depth=1
	s_wait_xcnt 0x0
	s_or_b32 exec_lo, exec_lo, s1
	s_add_co_i32 s2, s2, 0x10000
	s_delay_alu instid0(SALU_CYCLE_1)
	s_cmp_lt_u32 s2, s10
	s_cbranch_scc0 .LBB23_5
.LBB23_3:                               ; =>This Inner Loop Header: Depth=1
	s_and_saveexec_b32 s1, s0
	s_cbranch_execz .LBB23_2
; %bb.4:                                ;   in Loop: Header=BB23_3 Depth=1
	s_mul_u64 s[12:13], s[8:9], s[2:3]
	s_delay_alu instid0(SALU_CYCLE_1) | instskip(SKIP_4) | instid1(VALU_DEP_2)
	v_lshl_add_u64 v[8:9], s[12:13], 4, v[0:1]
	global_load_b128 v[2:5], v[8:9], off
	s_wait_loadcnt 0x0
	v_mul_f64_e32 v[10:11], s[6:7], v[4:5]
	v_mul_f64_e32 v[6:7], s[4:5], v[4:5]
	v_fma_f64 v[4:5], s[4:5], v[2:3], -v[10:11]
	s_delay_alu instid0(VALU_DEP_2)
	v_fmac_f64_e32 v[6:7], s[6:7], v[2:3]
	global_store_b128 v[8:9], v[4:7], off
	s_branch .LBB23_2
.LBB23_5:
	s_endpgm
	.section	.rodata,"a",@progbits
	.p2align	6, 0x0
	.amdhsa_kernel _ZL19rocblas_scal_kernelIiLi256E19rocblas_complex_numIdES1_S1_PS1_EviT3_lT4_lT_li
		.amdhsa_group_segment_fixed_size 0
		.amdhsa_private_segment_fixed_size 0
		.amdhsa_kernarg_size 68
		.amdhsa_user_sgpr_count 2
		.amdhsa_user_sgpr_dispatch_ptr 0
		.amdhsa_user_sgpr_queue_ptr 0
		.amdhsa_user_sgpr_kernarg_segment_ptr 1
		.amdhsa_user_sgpr_dispatch_id 0
		.amdhsa_user_sgpr_kernarg_preload_length 0
		.amdhsa_user_sgpr_kernarg_preload_offset 0
		.amdhsa_user_sgpr_private_segment_size 0
		.amdhsa_wavefront_size32 1
		.amdhsa_uses_dynamic_stack 0
		.amdhsa_enable_private_segment 0
		.amdhsa_system_sgpr_workgroup_id_x 1
		.amdhsa_system_sgpr_workgroup_id_y 0
		.amdhsa_system_sgpr_workgroup_id_z 1
		.amdhsa_system_sgpr_workgroup_info 0
		.amdhsa_system_vgpr_workitem_id 0
		.amdhsa_next_free_vgpr 12
		.amdhsa_next_free_sgpr 18
		.amdhsa_named_barrier_count 0
		.amdhsa_reserve_vcc 1
		.amdhsa_float_round_mode_32 0
		.amdhsa_float_round_mode_16_64 0
		.amdhsa_float_denorm_mode_32 3
		.amdhsa_float_denorm_mode_16_64 3
		.amdhsa_fp16_overflow 0
		.amdhsa_memory_ordered 1
		.amdhsa_forward_progress 1
		.amdhsa_inst_pref_size 3
		.amdhsa_round_robin_scheduling 0
		.amdhsa_exception_fp_ieee_invalid_op 0
		.amdhsa_exception_fp_denorm_src 0
		.amdhsa_exception_fp_ieee_div_zero 0
		.amdhsa_exception_fp_ieee_overflow 0
		.amdhsa_exception_fp_ieee_underflow 0
		.amdhsa_exception_fp_ieee_inexact 0
		.amdhsa_exception_int_div_zero 0
	.end_amdhsa_kernel
	.section	.text._ZL19rocblas_scal_kernelIiLi256E19rocblas_complex_numIdES1_S1_PS1_EviT3_lT4_lT_li,"axG",@progbits,_ZL19rocblas_scal_kernelIiLi256E19rocblas_complex_numIdES1_S1_PS1_EviT3_lT4_lT_li,comdat
.Lfunc_end23:
	.size	_ZL19rocblas_scal_kernelIiLi256E19rocblas_complex_numIdES1_S1_PS1_EviT3_lT4_lT_li, .Lfunc_end23-_ZL19rocblas_scal_kernelIiLi256E19rocblas_complex_numIdES1_S1_PS1_EviT3_lT4_lT_li
                                        ; -- End function
	.set _ZL19rocblas_scal_kernelIiLi256E19rocblas_complex_numIdES1_S1_PS1_EviT3_lT4_lT_li.num_vgpr, 12
	.set _ZL19rocblas_scal_kernelIiLi256E19rocblas_complex_numIdES1_S1_PS1_EviT3_lT4_lT_li.num_agpr, 0
	.set _ZL19rocblas_scal_kernelIiLi256E19rocblas_complex_numIdES1_S1_PS1_EviT3_lT4_lT_li.numbered_sgpr, 18
	.set _ZL19rocblas_scal_kernelIiLi256E19rocblas_complex_numIdES1_S1_PS1_EviT3_lT4_lT_li.num_named_barrier, 0
	.set _ZL19rocblas_scal_kernelIiLi256E19rocblas_complex_numIdES1_S1_PS1_EviT3_lT4_lT_li.private_seg_size, 0
	.set _ZL19rocblas_scal_kernelIiLi256E19rocblas_complex_numIdES1_S1_PS1_EviT3_lT4_lT_li.uses_vcc, 1
	.set _ZL19rocblas_scal_kernelIiLi256E19rocblas_complex_numIdES1_S1_PS1_EviT3_lT4_lT_li.uses_flat_scratch, 0
	.set _ZL19rocblas_scal_kernelIiLi256E19rocblas_complex_numIdES1_S1_PS1_EviT3_lT4_lT_li.has_dyn_sized_stack, 0
	.set _ZL19rocblas_scal_kernelIiLi256E19rocblas_complex_numIdES1_S1_PS1_EviT3_lT4_lT_li.has_recursion, 0
	.set _ZL19rocblas_scal_kernelIiLi256E19rocblas_complex_numIdES1_S1_PS1_EviT3_lT4_lT_li.has_indirect_call, 0
	.section	.AMDGPU.csdata,"",@progbits
; Kernel info:
; codeLenInByte = 352
; TotalNumSgprs: 20
; NumVgprs: 12
; ScratchSize: 0
; MemoryBound: 0
; FloatMode: 240
; IeeeMode: 1
; LDSByteSize: 0 bytes/workgroup (compile time only)
; SGPRBlocks: 0
; VGPRBlocks: 0
; NumSGPRsForWavesPerEU: 20
; NumVGPRsForWavesPerEU: 12
; NamedBarCnt: 0
; Occupancy: 16
; WaveLimiterHint : 0
; COMPUTE_PGM_RSRC2:SCRATCH_EN: 0
; COMPUTE_PGM_RSRC2:USER_SGPR: 2
; COMPUTE_PGM_RSRC2:TRAP_HANDLER: 0
; COMPUTE_PGM_RSRC2:TGID_X_EN: 1
; COMPUTE_PGM_RSRC2:TGID_Y_EN: 0
; COMPUTE_PGM_RSRC2:TGID_Z_EN: 1
; COMPUTE_PGM_RSRC2:TIDIG_COMP_CNT: 0
	.section	.text._ZL19rocblas_scal_kernelIlLi256E19rocblas_complex_numIdES1_PKS1_PS1_EviT3_lT4_lT_li,"axG",@progbits,_ZL19rocblas_scal_kernelIlLi256E19rocblas_complex_numIdES1_PKS1_PS1_EviT3_lT4_lT_li,comdat
	.globl	_ZL19rocblas_scal_kernelIlLi256E19rocblas_complex_numIdES1_PKS1_PS1_EviT3_lT4_lT_li ; -- Begin function _ZL19rocblas_scal_kernelIlLi256E19rocblas_complex_numIdES1_PKS1_PS1_EviT3_lT4_lT_li
	.p2align	8
	.type	_ZL19rocblas_scal_kernelIlLi256E19rocblas_complex_numIdES1_PKS1_PS1_EviT3_lT4_lT_li,@function
_ZL19rocblas_scal_kernelIlLi256E19rocblas_complex_numIdES1_PKS1_PS1_EviT3_lT4_lT_li: ; @_ZL19rocblas_scal_kernelIlLi256E19rocblas_complex_numIdES1_PKS1_PS1_EviT3_lT4_lT_li
; %bb.0:
	s_load_b32 s16, s[0:1], 0x38
	s_bfe_u32 s2, ttmp6, 0x40014
	s_lshr_b32 s3, ttmp7, 16
	s_add_co_i32 s2, s2, 1
	s_bfe_u32 s4, ttmp6, 0x40008
	s_mul_i32 s2, s3, s2
	s_getreg_b32 s17, hwreg(HW_REG_IB_STS2, 6, 4)
	s_add_co_i32 s4, s4, s2
	s_cmp_eq_u32 s17, 0
	s_cselect_b32 s2, s3, s4
	s_mov_b32 s3, 0
	s_wait_kmcnt 0x0
	s_cmp_ge_u32 s2, s16
	s_cbranch_scc1 .LBB24_5
; %bb.1:
	s_clause 0x1
	s_load_b256 s[4:11], s[0:1], 0x8
	s_load_b128 s[12:15], s[0:1], 0x28
	s_bfe_u32 s18, ttmp6, 0x4000c
	s_and_b32 s19, ttmp6, 15
	s_add_co_i32 s18, s18, 1
	v_mov_b32_e32 v5, 0
	s_mul_i32 s18, ttmp9, s18
	s_delay_alu instid0(SALU_CYCLE_1) | instskip(SKIP_4) | instid1(SALU_CYCLE_1)
	s_add_co_i32 s19, s19, s18
	s_wait_kmcnt 0x0
	s_lshl_b64 s[10:11], s[10:11], 4
	s_cmp_eq_u32 s17, 0
	s_cselect_b32 s17, ttmp9, s19
	v_lshl_or_b32 v4, s17, 8, v0
	s_delay_alu instid0(VALU_DEP_1)
	v_mul_u64_e32 v[0:1], s[12:13], v[4:5]
	s_load_b32 s12, s[0:1], 0x0
	s_wait_xcnt 0x0
	s_add_nc_u64 s[0:1], s[8:9], s[10:11]
	s_wait_kmcnt 0x0
	v_cmp_gt_u32_e32 vcc_lo, s12, v4
	s_delay_alu instid0(VALU_DEP_2)
	v_lshl_add_u64 v[6:7], v[0:1], 4, s[0:1]
	s_branch .LBB24_3
.LBB24_2:                               ;   in Loop: Header=BB24_3 Depth=1
	s_wait_xcnt 0x0
	s_or_b32 exec_lo, exec_lo, s0
	s_add_co_i32 s2, s2, 0x10000
	s_delay_alu instid0(SALU_CYCLE_1)
	s_cmp_lt_u32 s2, s16
	s_cbranch_scc0 .LBB24_5
.LBB24_3:                               ; =>This Inner Loop Header: Depth=1
	s_mul_u64 s[0:1], s[6:7], s[2:3]
	s_delay_alu instid0(SALU_CYCLE_1) | instskip(NEXT) | instid1(SALU_CYCLE_1)
	s_lshl_b64 s[0:1], s[0:1], 4
	s_add_nc_u64 s[0:1], s[4:5], s[0:1]
	global_load_b128 v[0:3], v5, s[0:1]
	s_wait_loadcnt 0x0
	s_wait_xcnt 0x0
	v_cmp_neq_f64_e64 s0, 1.0, v[0:1]
	v_cmp_neq_f64_e64 s1, 0, v[2:3]
	s_or_b32 s0, s0, s1
	s_delay_alu instid0(SALU_CYCLE_1) | instskip(NEXT) | instid1(SALU_CYCLE_1)
	s_and_b32 s1, vcc_lo, s0
	s_and_saveexec_b32 s0, s1
	s_cbranch_execz .LBB24_2
; %bb.4:                                ;   in Loop: Header=BB24_3 Depth=1
	s_mul_u64 s[8:9], s[14:15], s[2:3]
	s_delay_alu instid0(SALU_CYCLE_1) | instskip(SKIP_4) | instid1(VALU_DEP_2)
	v_lshl_add_u64 v[14:15], s[8:9], 4, v[6:7]
	global_load_b128 v[8:11], v[14:15], off
	s_wait_loadcnt 0x0
	v_mul_f64_e32 v[16:17], v[2:3], v[10:11]
	v_mul_f64_e32 v[12:13], v[0:1], v[10:11]
	v_fma_f64 v[10:11], v[0:1], v[8:9], -v[16:17]
	s_delay_alu instid0(VALU_DEP_2)
	v_fmac_f64_e32 v[12:13], v[2:3], v[8:9]
	global_store_b128 v[14:15], v[10:13], off
	s_branch .LBB24_2
.LBB24_5:
	s_endpgm
	.section	.rodata,"a",@progbits
	.p2align	6, 0x0
	.amdhsa_kernel _ZL19rocblas_scal_kernelIlLi256E19rocblas_complex_numIdES1_PKS1_PS1_EviT3_lT4_lT_li
		.amdhsa_group_segment_fixed_size 0
		.amdhsa_private_segment_fixed_size 0
		.amdhsa_kernarg_size 60
		.amdhsa_user_sgpr_count 2
		.amdhsa_user_sgpr_dispatch_ptr 0
		.amdhsa_user_sgpr_queue_ptr 0
		.amdhsa_user_sgpr_kernarg_segment_ptr 1
		.amdhsa_user_sgpr_dispatch_id 0
		.amdhsa_user_sgpr_kernarg_preload_length 0
		.amdhsa_user_sgpr_kernarg_preload_offset 0
		.amdhsa_user_sgpr_private_segment_size 0
		.amdhsa_wavefront_size32 1
		.amdhsa_uses_dynamic_stack 0
		.amdhsa_enable_private_segment 0
		.amdhsa_system_sgpr_workgroup_id_x 1
		.amdhsa_system_sgpr_workgroup_id_y 0
		.amdhsa_system_sgpr_workgroup_id_z 1
		.amdhsa_system_sgpr_workgroup_info 0
		.amdhsa_system_vgpr_workitem_id 0
		.amdhsa_next_free_vgpr 18
		.amdhsa_next_free_sgpr 20
		.amdhsa_named_barrier_count 0
		.amdhsa_reserve_vcc 1
		.amdhsa_float_round_mode_32 0
		.amdhsa_float_round_mode_16_64 0
		.amdhsa_float_denorm_mode_32 3
		.amdhsa_float_denorm_mode_16_64 3
		.amdhsa_fp16_overflow 0
		.amdhsa_memory_ordered 1
		.amdhsa_forward_progress 1
		.amdhsa_inst_pref_size 3
		.amdhsa_round_robin_scheduling 0
		.amdhsa_exception_fp_ieee_invalid_op 0
		.amdhsa_exception_fp_denorm_src 0
		.amdhsa_exception_fp_ieee_div_zero 0
		.amdhsa_exception_fp_ieee_overflow 0
		.amdhsa_exception_fp_ieee_underflow 0
		.amdhsa_exception_fp_ieee_inexact 0
		.amdhsa_exception_int_div_zero 0
	.end_amdhsa_kernel
	.section	.text._ZL19rocblas_scal_kernelIlLi256E19rocblas_complex_numIdES1_PKS1_PS1_EviT3_lT4_lT_li,"axG",@progbits,_ZL19rocblas_scal_kernelIlLi256E19rocblas_complex_numIdES1_PKS1_PS1_EviT3_lT4_lT_li,comdat
.Lfunc_end24:
	.size	_ZL19rocblas_scal_kernelIlLi256E19rocblas_complex_numIdES1_PKS1_PS1_EviT3_lT4_lT_li, .Lfunc_end24-_ZL19rocblas_scal_kernelIlLi256E19rocblas_complex_numIdES1_PKS1_PS1_EviT3_lT4_lT_li
                                        ; -- End function
	.set _ZL19rocblas_scal_kernelIlLi256E19rocblas_complex_numIdES1_PKS1_PS1_EviT3_lT4_lT_li.num_vgpr, 18
	.set _ZL19rocblas_scal_kernelIlLi256E19rocblas_complex_numIdES1_PKS1_PS1_EviT3_lT4_lT_li.num_agpr, 0
	.set _ZL19rocblas_scal_kernelIlLi256E19rocblas_complex_numIdES1_PKS1_PS1_EviT3_lT4_lT_li.numbered_sgpr, 20
	.set _ZL19rocblas_scal_kernelIlLi256E19rocblas_complex_numIdES1_PKS1_PS1_EviT3_lT4_lT_li.num_named_barrier, 0
	.set _ZL19rocblas_scal_kernelIlLi256E19rocblas_complex_numIdES1_PKS1_PS1_EviT3_lT4_lT_li.private_seg_size, 0
	.set _ZL19rocblas_scal_kernelIlLi256E19rocblas_complex_numIdES1_PKS1_PS1_EviT3_lT4_lT_li.uses_vcc, 1
	.set _ZL19rocblas_scal_kernelIlLi256E19rocblas_complex_numIdES1_PKS1_PS1_EviT3_lT4_lT_li.uses_flat_scratch, 0
	.set _ZL19rocblas_scal_kernelIlLi256E19rocblas_complex_numIdES1_PKS1_PS1_EviT3_lT4_lT_li.has_dyn_sized_stack, 0
	.set _ZL19rocblas_scal_kernelIlLi256E19rocblas_complex_numIdES1_PKS1_PS1_EviT3_lT4_lT_li.has_recursion, 0
	.set _ZL19rocblas_scal_kernelIlLi256E19rocblas_complex_numIdES1_PKS1_PS1_EviT3_lT4_lT_li.has_indirect_call, 0
	.section	.AMDGPU.csdata,"",@progbits
; Kernel info:
; codeLenInByte = 368
; TotalNumSgprs: 22
; NumVgprs: 18
; ScratchSize: 0
; MemoryBound: 0
; FloatMode: 240
; IeeeMode: 1
; LDSByteSize: 0 bytes/workgroup (compile time only)
; SGPRBlocks: 0
; VGPRBlocks: 1
; NumSGPRsForWavesPerEU: 22
; NumVGPRsForWavesPerEU: 18
; NamedBarCnt: 0
; Occupancy: 16
; WaveLimiterHint : 0
; COMPUTE_PGM_RSRC2:SCRATCH_EN: 0
; COMPUTE_PGM_RSRC2:USER_SGPR: 2
; COMPUTE_PGM_RSRC2:TRAP_HANDLER: 0
; COMPUTE_PGM_RSRC2:TGID_X_EN: 1
; COMPUTE_PGM_RSRC2:TGID_Y_EN: 0
; COMPUTE_PGM_RSRC2:TGID_Z_EN: 1
; COMPUTE_PGM_RSRC2:TIDIG_COMP_CNT: 0
	.section	.text._ZL19rocblas_scal_kernelIlLi256E19rocblas_complex_numIdES1_S1_PS1_EviT3_lT4_lT_li,"axG",@progbits,_ZL19rocblas_scal_kernelIlLi256E19rocblas_complex_numIdES1_S1_PS1_EviT3_lT4_lT_li,comdat
	.globl	_ZL19rocblas_scal_kernelIlLi256E19rocblas_complex_numIdES1_S1_PS1_EviT3_lT4_lT_li ; -- Begin function _ZL19rocblas_scal_kernelIlLi256E19rocblas_complex_numIdES1_S1_PS1_EviT3_lT4_lT_li
	.p2align	8
	.type	_ZL19rocblas_scal_kernelIlLi256E19rocblas_complex_numIdES1_S1_PS1_EviT3_lT4_lT_li,@function
_ZL19rocblas_scal_kernelIlLi256E19rocblas_complex_numIdES1_S1_PS1_EviT3_lT4_lT_li: ; @_ZL19rocblas_scal_kernelIlLi256E19rocblas_complex_numIdES1_S1_PS1_EviT3_lT4_lT_li
; %bb.0:
	s_load_b32 s16, s[0:1], 0x40
	s_bfe_u32 s2, ttmp6, 0x40014
	s_lshr_b32 s3, ttmp7, 16
	s_add_co_i32 s2, s2, 1
	s_bfe_u32 s4, ttmp6, 0x40008
	s_mul_i32 s2, s3, s2
	s_getreg_b32 s17, hwreg(HW_REG_IB_STS2, 6, 4)
	s_add_co_i32 s4, s4, s2
	s_cmp_eq_u32 s17, 0
	s_cselect_b32 s2, s3, s4
	s_mov_b32 s3, 0
	s_wait_kmcnt 0x0
	s_cmp_ge_u32 s2, s16
	s_cbranch_scc1 .LBB25_5
; %bb.1:
	s_clause 0x1
	s_load_b256 s[4:11], s[0:1], 0x20
	s_load_b128 s[12:15], s[0:1], 0x8
	s_bfe_u32 s18, ttmp6, 0x4000c
	s_and_b32 s19, ttmp6, 15
	s_add_co_i32 s18, s18, 1
	v_mov_b32_e32 v1, 0
	s_mul_i32 s18, ttmp9, s18
	s_delay_alu instid0(SALU_CYCLE_1) | instskip(SKIP_4) | instid1(SALU_CYCLE_1)
	s_add_co_i32 s19, s19, s18
	s_wait_kmcnt 0x0
	s_lshl_b64 s[6:7], s[6:7], 4
	s_cmp_eq_u32 s17, 0
	s_cselect_b32 s17, ttmp9, s19
	v_lshl_or_b32 v0, s17, 8, v0
	v_cmp_neq_f64_e64 s17, s[12:13], 1.0
	s_delay_alu instid0(VALU_DEP_2)
	v_mul_u64_e32 v[2:3], s[8:9], v[0:1]
	v_cmp_neq_f64_e64 s8, s[14:15], 0
	s_load_b32 s9, s[0:1], 0x0
	s_wait_xcnt 0x0
	s_add_nc_u64 s[0:1], s[4:5], s[6:7]
	s_wait_kmcnt 0x0
	v_cmp_gt_u32_e32 vcc_lo, s9, v0
	v_lshl_add_u64 v[0:1], v[2:3], 4, s[0:1]
	s_or_b32 s0, s17, s8
	s_delay_alu instid0(SALU_CYCLE_1)
	s_and_b32 s0, vcc_lo, s0
	s_branch .LBB25_3
.LBB25_2:                               ;   in Loop: Header=BB25_3 Depth=1
	s_wait_xcnt 0x0
	s_or_b32 exec_lo, exec_lo, s1
	s_add_co_i32 s2, s2, 0x10000
	s_delay_alu instid0(SALU_CYCLE_1)
	s_cmp_lt_u32 s2, s16
	s_cbranch_scc0 .LBB25_5
.LBB25_3:                               ; =>This Inner Loop Header: Depth=1
	s_and_saveexec_b32 s1, s0
	s_cbranch_execz .LBB25_2
; %bb.4:                                ;   in Loop: Header=BB25_3 Depth=1
	s_mul_u64 s[4:5], s[10:11], s[2:3]
	s_delay_alu instid0(SALU_CYCLE_1) | instskip(SKIP_4) | instid1(VALU_DEP_2)
	v_lshl_add_u64 v[8:9], s[4:5], 4, v[0:1]
	global_load_b128 v[2:5], v[8:9], off
	s_wait_loadcnt 0x0
	v_mul_f64_e32 v[10:11], s[14:15], v[4:5]
	v_mul_f64_e32 v[6:7], s[12:13], v[4:5]
	v_fma_f64 v[4:5], s[12:13], v[2:3], -v[10:11]
	s_delay_alu instid0(VALU_DEP_2)
	v_fmac_f64_e32 v[6:7], s[14:15], v[2:3]
	global_store_b128 v[8:9], v[4:7], off
	s_branch .LBB25_2
.LBB25_5:
	s_endpgm
	.section	.rodata,"a",@progbits
	.p2align	6, 0x0
	.amdhsa_kernel _ZL19rocblas_scal_kernelIlLi256E19rocblas_complex_numIdES1_S1_PS1_EviT3_lT4_lT_li
		.amdhsa_group_segment_fixed_size 0
		.amdhsa_private_segment_fixed_size 0
		.amdhsa_kernarg_size 68
		.amdhsa_user_sgpr_count 2
		.amdhsa_user_sgpr_dispatch_ptr 0
		.amdhsa_user_sgpr_queue_ptr 0
		.amdhsa_user_sgpr_kernarg_segment_ptr 1
		.amdhsa_user_sgpr_dispatch_id 0
		.amdhsa_user_sgpr_kernarg_preload_length 0
		.amdhsa_user_sgpr_kernarg_preload_offset 0
		.amdhsa_user_sgpr_private_segment_size 0
		.amdhsa_wavefront_size32 1
		.amdhsa_uses_dynamic_stack 0
		.amdhsa_enable_private_segment 0
		.amdhsa_system_sgpr_workgroup_id_x 1
		.amdhsa_system_sgpr_workgroup_id_y 0
		.amdhsa_system_sgpr_workgroup_id_z 1
		.amdhsa_system_sgpr_workgroup_info 0
		.amdhsa_system_vgpr_workitem_id 0
		.amdhsa_next_free_vgpr 12
		.amdhsa_next_free_sgpr 20
		.amdhsa_named_barrier_count 0
		.amdhsa_reserve_vcc 1
		.amdhsa_float_round_mode_32 0
		.amdhsa_float_round_mode_16_64 0
		.amdhsa_float_denorm_mode_32 3
		.amdhsa_float_denorm_mode_16_64 3
		.amdhsa_fp16_overflow 0
		.amdhsa_memory_ordered 1
		.amdhsa_forward_progress 1
		.amdhsa_inst_pref_size 3
		.amdhsa_round_robin_scheduling 0
		.amdhsa_exception_fp_ieee_invalid_op 0
		.amdhsa_exception_fp_denorm_src 0
		.amdhsa_exception_fp_ieee_div_zero 0
		.amdhsa_exception_fp_ieee_overflow 0
		.amdhsa_exception_fp_ieee_underflow 0
		.amdhsa_exception_fp_ieee_inexact 0
		.amdhsa_exception_int_div_zero 0
	.end_amdhsa_kernel
	.section	.text._ZL19rocblas_scal_kernelIlLi256E19rocblas_complex_numIdES1_S1_PS1_EviT3_lT4_lT_li,"axG",@progbits,_ZL19rocblas_scal_kernelIlLi256E19rocblas_complex_numIdES1_S1_PS1_EviT3_lT4_lT_li,comdat
.Lfunc_end25:
	.size	_ZL19rocblas_scal_kernelIlLi256E19rocblas_complex_numIdES1_S1_PS1_EviT3_lT4_lT_li, .Lfunc_end25-_ZL19rocblas_scal_kernelIlLi256E19rocblas_complex_numIdES1_S1_PS1_EviT3_lT4_lT_li
                                        ; -- End function
	.set _ZL19rocblas_scal_kernelIlLi256E19rocblas_complex_numIdES1_S1_PS1_EviT3_lT4_lT_li.num_vgpr, 12
	.set _ZL19rocblas_scal_kernelIlLi256E19rocblas_complex_numIdES1_S1_PS1_EviT3_lT4_lT_li.num_agpr, 0
	.set _ZL19rocblas_scal_kernelIlLi256E19rocblas_complex_numIdES1_S1_PS1_EviT3_lT4_lT_li.numbered_sgpr, 20
	.set _ZL19rocblas_scal_kernelIlLi256E19rocblas_complex_numIdES1_S1_PS1_EviT3_lT4_lT_li.num_named_barrier, 0
	.set _ZL19rocblas_scal_kernelIlLi256E19rocblas_complex_numIdES1_S1_PS1_EviT3_lT4_lT_li.private_seg_size, 0
	.set _ZL19rocblas_scal_kernelIlLi256E19rocblas_complex_numIdES1_S1_PS1_EviT3_lT4_lT_li.uses_vcc, 1
	.set _ZL19rocblas_scal_kernelIlLi256E19rocblas_complex_numIdES1_S1_PS1_EviT3_lT4_lT_li.uses_flat_scratch, 0
	.set _ZL19rocblas_scal_kernelIlLi256E19rocblas_complex_numIdES1_S1_PS1_EviT3_lT4_lT_li.has_dyn_sized_stack, 0
	.set _ZL19rocblas_scal_kernelIlLi256E19rocblas_complex_numIdES1_S1_PS1_EviT3_lT4_lT_li.has_recursion, 0
	.set _ZL19rocblas_scal_kernelIlLi256E19rocblas_complex_numIdES1_S1_PS1_EviT3_lT4_lT_li.has_indirect_call, 0
	.section	.AMDGPU.csdata,"",@progbits
; Kernel info:
; codeLenInByte = 328
; TotalNumSgprs: 22
; NumVgprs: 12
; ScratchSize: 0
; MemoryBound: 0
; FloatMode: 240
; IeeeMode: 1
; LDSByteSize: 0 bytes/workgroup (compile time only)
; SGPRBlocks: 0
; VGPRBlocks: 0
; NumSGPRsForWavesPerEU: 22
; NumVGPRsForWavesPerEU: 12
; NamedBarCnt: 0
; Occupancy: 16
; WaveLimiterHint : 0
; COMPUTE_PGM_RSRC2:SCRATCH_EN: 0
; COMPUTE_PGM_RSRC2:USER_SGPR: 2
; COMPUTE_PGM_RSRC2:TRAP_HANDLER: 0
; COMPUTE_PGM_RSRC2:TGID_X_EN: 1
; COMPUTE_PGM_RSRC2:TGID_Y_EN: 0
; COMPUTE_PGM_RSRC2:TGID_Z_EN: 1
; COMPUTE_PGM_RSRC2:TIDIG_COMP_CNT: 0
	.section	.text._ZL22rocblas_sscal_2_kernelILi256E19rocblas_complex_numIfES1_PKfPS1_EviT2_lT3_lli,"axG",@progbits,_ZL22rocblas_sscal_2_kernelILi256E19rocblas_complex_numIfES1_PKfPS1_EviT2_lT3_lli,comdat
	.globl	_ZL22rocblas_sscal_2_kernelILi256E19rocblas_complex_numIfES1_PKfPS1_EviT2_lT3_lli ; -- Begin function _ZL22rocblas_sscal_2_kernelILi256E19rocblas_complex_numIfES1_PKfPS1_EviT2_lT3_lli
	.p2align	8
	.type	_ZL22rocblas_sscal_2_kernelILi256E19rocblas_complex_numIfES1_PKfPS1_EviT2_lT3_lli,@function
_ZL22rocblas_sscal_2_kernelILi256E19rocblas_complex_numIfES1_PKfPS1_EviT2_lT3_lli: ; @_ZL22rocblas_sscal_2_kernelILi256E19rocblas_complex_numIfES1_PKfPS1_EviT2_lT3_lli
; %bb.0:
	s_load_b32 s12, s[0:1], 0x30
	s_bfe_u32 s2, ttmp6, 0x40014
	s_lshr_b32 s3, ttmp7, 16
	s_add_co_i32 s2, s2, 1
	s_bfe_u32 s4, ttmp6, 0x40008
	s_mul_i32 s2, s3, s2
	s_getreg_b32 s13, hwreg(HW_REG_IB_STS2, 6, 4)
	s_add_co_i32 s4, s4, s2
	s_cmp_eq_u32 s13, 0
	s_cselect_b32 s2, s3, s4
	s_mov_b32 s3, 0
	s_wait_kmcnt 0x0
	s_cmp_ge_u32 s2, s12
	s_cbranch_scc1 .LBB26_9
; %bb.1:
	s_clause 0x2
	s_load_b128 s[4:7], s[0:1], 0x20
	s_load_b32 s16, s[0:1], 0x0
	s_load_b64 s[14:15], s[0:1], 0x18
	s_bfe_u32 s17, ttmp6, 0x4000c
	s_load_b128 s[8:11], s[0:1], 0x8
	s_add_co_i32 s17, s17, 1
	s_wait_xcnt 0x0
	s_and_b32 s0, ttmp6, 15
	s_mul_i32 s1, ttmp9, s17
	v_lshlrev_b32_e32 v0, 1, v0
	s_add_co_i32 s0, s0, s1
	s_wait_kmcnt 0x0
	s_lshl_b64 s[4:5], s[4:5], 3
	s_cmp_eq_u32 s13, 0
	s_add_nc_u64 s[4:5], s[14:15], s[4:5]
	s_cselect_b32 s0, ttmp9, s0
	s_bitcmp1_b32 s16, 0
	v_lshl_or_b32 v0, s0, 9, v0
	s_cselect_b32 s1, -1, 0
	s_add_co_i32 s0, s16, -1
	s_delay_alu instid0(VALU_DEP_1) | instskip(SKIP_1) | instid1(VALU_DEP_2)
	v_or_b32_e32 v1, 1, v0
	v_cmp_eq_u32_e64 s0, s0, v0
	v_cmp_gt_u32_e32 vcc_lo, s16, v1
	v_mov_b32_e32 v1, 0
	s_and_b32 s1, s1, s0
	s_branch .LBB26_4
.LBB26_2:                               ;   in Loop: Header=BB26_4 Depth=1
	s_wait_xcnt 0x0
	s_or_b32 exec_lo, exec_lo, s13
.LBB26_3:                               ;   in Loop: Header=BB26_4 Depth=1
	s_add_co_i32 s2, s2, 0x10000
	s_delay_alu instid0(SALU_CYCLE_1)
	s_cmp_lt_u32 s2, s12
	s_cbranch_scc0 .LBB26_9
.LBB26_4:                               ; =>This Inner Loop Header: Depth=1
	s_wait_xcnt 0x0
	s_mul_u64 s[14:15], s[10:11], s[2:3]
	s_delay_alu instid0(SALU_CYCLE_1) | instskip(NEXT) | instid1(SALU_CYCLE_1)
	s_lshl_b64 s[14:15], s[14:15], 2
	s_add_nc_u64 s[14:15], s[8:9], s[14:15]
	s_load_b32 s0, s[14:15], 0x0
	s_wait_kmcnt 0x0
	s_cmp_eq_f32 s0, 1.0
	s_cbranch_scc1 .LBB26_3
; %bb.5:                                ;   in Loop: Header=BB26_4 Depth=1
	s_wait_xcnt 0x0
	s_mul_u64 s[14:15], s[6:7], s[2:3]
	s_delay_alu instid0(SALU_CYCLE_1) | instskip(NEXT) | instid1(SALU_CYCLE_1)
	s_lshl_b64 s[14:15], s[14:15], 3
	s_add_nc_u64 s[14:15], s[4:5], s[14:15]
	s_delay_alu instid0(SALU_CYCLE_1)
	v_lshl_add_u64 v[2:3], v[0:1], 3, s[14:15]
	s_and_saveexec_b32 s13, vcc_lo
	s_cbranch_execz .LBB26_7
; %bb.6:                                ;   in Loop: Header=BB26_4 Depth=1
	global_load_b128 v[4:7], v[2:3], off
	v_mov_b64_e32 v[12:13], s[0:1]
	s_wait_loadcnt 0x0
	v_pk_mul_f32 v[8:9], v[4:5], 0 op_sel_hi:[1,0]
	v_pk_mul_f32 v[10:11], v[6:7], 0 op_sel_hi:[1,0]
	s_delay_alu instid0(VALU_DEP_2) | instskip(NEXT) | instid1(VALU_DEP_2)
	v_pk_fma_f32 v[14:15], s[0:1], v[4:5], v[8:9] op_sel:[0,0,1] op_sel_hi:[0,1,0]
	v_pk_fma_f32 v[16:17], s[0:1], v[6:7], v[10:11] op_sel:[0,0,1] op_sel_hi:[0,1,0]
	v_pk_fma_f32 v[4:5], v[12:13], v[4:5], v[8:9] op_sel:[0,0,1] op_sel_hi:[1,1,0] neg_lo:[0,0,1] neg_hi:[0,0,1]
	v_pk_fma_f32 v[6:7], v[12:13], v[6:7], v[10:11] op_sel:[0,0,1] op_sel_hi:[1,1,0] neg_lo:[0,0,1] neg_hi:[0,0,1]
	s_delay_alu instid0(VALU_DEP_3)
	v_dual_mov_b32 v5, v15 :: v_dual_mov_b32 v7, v17
	global_store_b128 v[2:3], v[4:7], off
.LBB26_7:                               ;   in Loop: Header=BB26_4 Depth=1
	s_wait_xcnt 0x0
	s_or_b32 exec_lo, exec_lo, s13
	s_and_saveexec_b32 s13, s1
	s_cbranch_execz .LBB26_2
; %bb.8:                                ;   in Loop: Header=BB26_4 Depth=1
	global_load_b64 v[4:5], v[2:3], off
	v_mov_b64_e32 v[8:9], s[0:1]
	s_wait_loadcnt 0x0
	v_pk_mul_f32 v[6:7], v[4:5], 0 op_sel_hi:[1,0]
	s_delay_alu instid0(VALU_DEP_1) | instskip(NEXT) | instid1(VALU_DEP_3)
	v_pk_fma_f32 v[10:11], s[0:1], v[4:5], v[6:7] op_sel:[0,0,1] op_sel_hi:[0,1,0]
	v_pk_fma_f32 v[4:5], v[8:9], v[4:5], v[6:7] op_sel:[0,0,1] op_sel_hi:[1,1,0] neg_lo:[0,0,1] neg_hi:[0,0,1]
	s_delay_alu instid0(VALU_DEP_2)
	v_mov_b32_e32 v5, v11
	global_store_b64 v[2:3], v[4:5], off
	s_branch .LBB26_2
.LBB26_9:
	s_endpgm
	.section	.rodata,"a",@progbits
	.p2align	6, 0x0
	.amdhsa_kernel _ZL22rocblas_sscal_2_kernelILi256E19rocblas_complex_numIfES1_PKfPS1_EviT2_lT3_lli
		.amdhsa_group_segment_fixed_size 0
		.amdhsa_private_segment_fixed_size 0
		.amdhsa_kernarg_size 52
		.amdhsa_user_sgpr_count 2
		.amdhsa_user_sgpr_dispatch_ptr 0
		.amdhsa_user_sgpr_queue_ptr 0
		.amdhsa_user_sgpr_kernarg_segment_ptr 1
		.amdhsa_user_sgpr_dispatch_id 0
		.amdhsa_user_sgpr_kernarg_preload_length 0
		.amdhsa_user_sgpr_kernarg_preload_offset 0
		.amdhsa_user_sgpr_private_segment_size 0
		.amdhsa_wavefront_size32 1
		.amdhsa_uses_dynamic_stack 0
		.amdhsa_enable_private_segment 0
		.amdhsa_system_sgpr_workgroup_id_x 1
		.amdhsa_system_sgpr_workgroup_id_y 0
		.amdhsa_system_sgpr_workgroup_id_z 1
		.amdhsa_system_sgpr_workgroup_info 0
		.amdhsa_system_vgpr_workitem_id 0
		.amdhsa_next_free_vgpr 18
		.amdhsa_next_free_sgpr 18
		.amdhsa_named_barrier_count 0
		.amdhsa_reserve_vcc 1
		.amdhsa_float_round_mode_32 0
		.amdhsa_float_round_mode_16_64 0
		.amdhsa_float_denorm_mode_32 3
		.amdhsa_float_denorm_mode_16_64 3
		.amdhsa_fp16_overflow 0
		.amdhsa_memory_ordered 1
		.amdhsa_forward_progress 1
		.amdhsa_inst_pref_size 4
		.amdhsa_round_robin_scheduling 0
		.amdhsa_exception_fp_ieee_invalid_op 0
		.amdhsa_exception_fp_denorm_src 0
		.amdhsa_exception_fp_ieee_div_zero 0
		.amdhsa_exception_fp_ieee_overflow 0
		.amdhsa_exception_fp_ieee_underflow 0
		.amdhsa_exception_fp_ieee_inexact 0
		.amdhsa_exception_int_div_zero 0
	.end_amdhsa_kernel
	.section	.text._ZL22rocblas_sscal_2_kernelILi256E19rocblas_complex_numIfES1_PKfPS1_EviT2_lT3_lli,"axG",@progbits,_ZL22rocblas_sscal_2_kernelILi256E19rocblas_complex_numIfES1_PKfPS1_EviT2_lT3_lli,comdat
.Lfunc_end26:
	.size	_ZL22rocblas_sscal_2_kernelILi256E19rocblas_complex_numIfES1_PKfPS1_EviT2_lT3_lli, .Lfunc_end26-_ZL22rocblas_sscal_2_kernelILi256E19rocblas_complex_numIfES1_PKfPS1_EviT2_lT3_lli
                                        ; -- End function
	.set _ZL22rocblas_sscal_2_kernelILi256E19rocblas_complex_numIfES1_PKfPS1_EviT2_lT3_lli.num_vgpr, 18
	.set _ZL22rocblas_sscal_2_kernelILi256E19rocblas_complex_numIfES1_PKfPS1_EviT2_lT3_lli.num_agpr, 0
	.set _ZL22rocblas_sscal_2_kernelILi256E19rocblas_complex_numIfES1_PKfPS1_EviT2_lT3_lli.numbered_sgpr, 18
	.set _ZL22rocblas_sscal_2_kernelILi256E19rocblas_complex_numIfES1_PKfPS1_EviT2_lT3_lli.num_named_barrier, 0
	.set _ZL22rocblas_sscal_2_kernelILi256E19rocblas_complex_numIfES1_PKfPS1_EviT2_lT3_lli.private_seg_size, 0
	.set _ZL22rocblas_sscal_2_kernelILi256E19rocblas_complex_numIfES1_PKfPS1_EviT2_lT3_lli.uses_vcc, 1
	.set _ZL22rocblas_sscal_2_kernelILi256E19rocblas_complex_numIfES1_PKfPS1_EviT2_lT3_lli.uses_flat_scratch, 0
	.set _ZL22rocblas_sscal_2_kernelILi256E19rocblas_complex_numIfES1_PKfPS1_EviT2_lT3_lli.has_dyn_sized_stack, 0
	.set _ZL22rocblas_sscal_2_kernelILi256E19rocblas_complex_numIfES1_PKfPS1_EviT2_lT3_lli.has_recursion, 0
	.set _ZL22rocblas_sscal_2_kernelILi256E19rocblas_complex_numIfES1_PKfPS1_EviT2_lT3_lli.has_indirect_call, 0
	.section	.AMDGPU.csdata,"",@progbits
; Kernel info:
; codeLenInByte = 508
; TotalNumSgprs: 20
; NumVgprs: 18
; ScratchSize: 0
; MemoryBound: 0
; FloatMode: 240
; IeeeMode: 1
; LDSByteSize: 0 bytes/workgroup (compile time only)
; SGPRBlocks: 0
; VGPRBlocks: 1
; NumSGPRsForWavesPerEU: 20
; NumVGPRsForWavesPerEU: 18
; NamedBarCnt: 0
; Occupancy: 16
; WaveLimiterHint : 0
; COMPUTE_PGM_RSRC2:SCRATCH_EN: 0
; COMPUTE_PGM_RSRC2:USER_SGPR: 2
; COMPUTE_PGM_RSRC2:TRAP_HANDLER: 0
; COMPUTE_PGM_RSRC2:TGID_X_EN: 1
; COMPUTE_PGM_RSRC2:TGID_Y_EN: 0
; COMPUTE_PGM_RSRC2:TGID_Z_EN: 1
; COMPUTE_PGM_RSRC2:TIDIG_COMP_CNT: 0
	.section	.text._ZL22rocblas_sscal_2_kernelILi256E19rocblas_complex_numIfES1_fPS1_EviT2_lT3_lli,"axG",@progbits,_ZL22rocblas_sscal_2_kernelILi256E19rocblas_complex_numIfES1_fPS1_EviT2_lT3_lli,comdat
	.globl	_ZL22rocblas_sscal_2_kernelILi256E19rocblas_complex_numIfES1_fPS1_EviT2_lT3_lli ; -- Begin function _ZL22rocblas_sscal_2_kernelILi256E19rocblas_complex_numIfES1_fPS1_EviT2_lT3_lli
	.p2align	8
	.type	_ZL22rocblas_sscal_2_kernelILi256E19rocblas_complex_numIfES1_fPS1_EviT2_lT3_lli,@function
_ZL22rocblas_sscal_2_kernelILi256E19rocblas_complex_numIfES1_fPS1_EviT2_lT3_lli: ; @_ZL22rocblas_sscal_2_kernelILi256E19rocblas_complex_numIfES1_fPS1_EviT2_lT3_lli
; %bb.0:
	s_load_b32 s10, s[0:1], 0x28
	s_bfe_u32 s2, ttmp6, 0x40014
	s_lshr_b32 s3, ttmp7, 16
	s_add_co_i32 s2, s2, 1
	s_bfe_u32 s4, ttmp6, 0x40008
	s_mul_i32 s2, s3, s2
	s_getreg_b32 s11, hwreg(HW_REG_IB_STS2, 6, 4)
	s_add_co_i32 s4, s4, s2
	s_cmp_eq_u32 s11, 0
	s_cselect_b32 s2, s3, s4
	s_mov_b32 s3, 0
	s_wait_kmcnt 0x0
	s_cmp_ge_u32 s2, s10
	s_cbranch_scc1 .LBB27_9
; %bb.1:
	s_clause 0x1
	s_load_b128 s[4:7], s[0:1], 0x18
	s_load_b64 s[8:9], s[0:1], 0x0
	s_bfe_u32 s12, ttmp6, 0x4000c
	s_and_b32 s14, ttmp6, 15
	s_add_co_i32 s12, s12, 1
	v_dual_mov_b32 v1, 0 :: v_dual_lshlrev_b32 v0, 1, v0
	s_mul_i32 s15, ttmp9, s12
	s_load_b64 s[12:13], s[0:1], 0x10
	s_add_co_i32 s14, s14, s15
	s_wait_kmcnt 0x0
	s_lshl_b64 s[4:5], s[4:5], 3
	s_cmp_eq_u32 s11, 0
	s_cselect_b32 s0, ttmp9, s14
	s_cmp_neq_f32 s9, 1.0
	v_lshl_or_b32 v0, s0, 9, v0
	s_add_nc_u64 s[4:5], s[12:13], s[4:5]
	s_cselect_b32 s1, -1, 0
	s_bitcmp1_b32 s8, 0
	s_delay_alu instid0(VALU_DEP_1) | instskip(SKIP_2) | instid1(SALU_CYCLE_1)
	v_or_b32_e32 v2, 1, v0
	s_cselect_b32 s11, -1, 0
	s_add_co_i32 s0, s8, -1
	v_cmp_eq_u32_e32 vcc_lo, s0, v0
	s_delay_alu instid0(VALU_DEP_2)
	v_cmp_gt_u32_e64 s0, s8, v2
	s_mov_b32 s8, s9
	s_and_b32 s11, s11, vcc_lo
	s_branch .LBB27_4
.LBB27_2:                               ;   in Loop: Header=BB27_4 Depth=1
	s_wait_xcnt 0x0
	s_or_b32 exec_lo, exec_lo, s12
.LBB27_3:                               ;   in Loop: Header=BB27_4 Depth=1
	s_add_co_i32 s2, s2, 0x10000
	s_delay_alu instid0(SALU_CYCLE_1)
	s_cmp_lt_u32 s2, s10
	s_cbranch_scc0 .LBB27_9
.LBB27_4:                               ; =>This Inner Loop Header: Depth=1
	s_and_not1_b32 vcc_lo, exec_lo, s1
	s_cbranch_vccnz .LBB27_3
; %bb.5:                                ;   in Loop: Header=BB27_4 Depth=1
	s_mul_u64 s[12:13], s[6:7], s[2:3]
	s_delay_alu instid0(SALU_CYCLE_1) | instskip(NEXT) | instid1(SALU_CYCLE_1)
	s_lshl_b64 s[12:13], s[12:13], 3
	s_add_nc_u64 s[12:13], s[4:5], s[12:13]
	s_delay_alu instid0(SALU_CYCLE_1)
	v_lshl_add_u64 v[2:3], v[0:1], 3, s[12:13]
	s_and_saveexec_b32 s12, s0
	s_cbranch_execz .LBB27_7
; %bb.6:                                ;   in Loop: Header=BB27_4 Depth=1
	global_load_b128 v[4:7], v[2:3], off
	v_mov_b64_e32 v[8:9], s[8:9]
	s_wait_loadcnt 0x0
	v_pk_mul_f32 v[10:11], v[4:5], 0 op_sel_hi:[1,0]
	v_pk_mul_f32 v[12:13], v[6:7], 0 op_sel_hi:[1,0]
	s_delay_alu instid0(VALU_DEP_2) | instskip(NEXT) | instid1(VALU_DEP_2)
	v_pk_fma_f32 v[14:15], v[8:9], v[4:5], v[10:11] op_sel:[0,0,1] op_sel_hi:[1,1,0]
	v_pk_fma_f32 v[16:17], v[8:9], v[6:7], v[12:13] op_sel:[0,0,1] op_sel_hi:[1,1,0]
	v_pk_fma_f32 v[4:5], v[8:9], v[4:5], v[10:11] op_sel:[0,0,1] op_sel_hi:[1,1,0] neg_lo:[0,0,1] neg_hi:[0,0,1]
	v_pk_fma_f32 v[6:7], v[8:9], v[6:7], v[12:13] op_sel:[0,0,1] op_sel_hi:[1,1,0] neg_lo:[0,0,1] neg_hi:[0,0,1]
	s_delay_alu instid0(VALU_DEP_3)
	v_dual_mov_b32 v5, v15 :: v_dual_mov_b32 v7, v17
	global_store_b128 v[2:3], v[4:7], off
.LBB27_7:                               ;   in Loop: Header=BB27_4 Depth=1
	s_wait_xcnt 0x0
	s_or_b32 exec_lo, exec_lo, s12
	s_and_saveexec_b32 s12, s11
	s_cbranch_execz .LBB27_2
; %bb.8:                                ;   in Loop: Header=BB27_4 Depth=1
	global_load_b64 v[4:5], v[2:3], off
	v_mov_b64_e32 v[8:9], s[8:9]
	s_wait_loadcnt 0x0
	v_pk_mul_f32 v[6:7], v[4:5], 0 op_sel_hi:[1,0]
	s_delay_alu instid0(VALU_DEP_1) | instskip(SKIP_1) | instid1(VALU_DEP_2)
	v_pk_fma_f32 v[10:11], v[8:9], v[4:5], v[6:7] op_sel:[0,0,1] op_sel_hi:[1,1,0]
	v_pk_fma_f32 v[4:5], v[8:9], v[4:5], v[6:7] op_sel:[0,0,1] op_sel_hi:[1,1,0] neg_lo:[0,0,1] neg_hi:[0,0,1]
	v_mov_b32_e32 v5, v11
	global_store_b64 v[2:3], v[4:5], off
	s_branch .LBB27_2
.LBB27_9:
	s_endpgm
	.section	.rodata,"a",@progbits
	.p2align	6, 0x0
	.amdhsa_kernel _ZL22rocblas_sscal_2_kernelILi256E19rocblas_complex_numIfES1_fPS1_EviT2_lT3_lli
		.amdhsa_group_segment_fixed_size 0
		.amdhsa_private_segment_fixed_size 0
		.amdhsa_kernarg_size 44
		.amdhsa_user_sgpr_count 2
		.amdhsa_user_sgpr_dispatch_ptr 0
		.amdhsa_user_sgpr_queue_ptr 0
		.amdhsa_user_sgpr_kernarg_segment_ptr 1
		.amdhsa_user_sgpr_dispatch_id 0
		.amdhsa_user_sgpr_kernarg_preload_length 0
		.amdhsa_user_sgpr_kernarg_preload_offset 0
		.amdhsa_user_sgpr_private_segment_size 0
		.amdhsa_wavefront_size32 1
		.amdhsa_uses_dynamic_stack 0
		.amdhsa_enable_private_segment 0
		.amdhsa_system_sgpr_workgroup_id_x 1
		.amdhsa_system_sgpr_workgroup_id_y 0
		.amdhsa_system_sgpr_workgroup_id_z 1
		.amdhsa_system_sgpr_workgroup_info 0
		.amdhsa_system_vgpr_workitem_id 0
		.amdhsa_next_free_vgpr 18
		.amdhsa_next_free_sgpr 16
		.amdhsa_named_barrier_count 0
		.amdhsa_reserve_vcc 1
		.amdhsa_float_round_mode_32 0
		.amdhsa_float_round_mode_16_64 0
		.amdhsa_float_denorm_mode_32 3
		.amdhsa_float_denorm_mode_16_64 3
		.amdhsa_fp16_overflow 0
		.amdhsa_memory_ordered 1
		.amdhsa_forward_progress 1
		.amdhsa_inst_pref_size 4
		.amdhsa_round_robin_scheduling 0
		.amdhsa_exception_fp_ieee_invalid_op 0
		.amdhsa_exception_fp_denorm_src 0
		.amdhsa_exception_fp_ieee_div_zero 0
		.amdhsa_exception_fp_ieee_overflow 0
		.amdhsa_exception_fp_ieee_underflow 0
		.amdhsa_exception_fp_ieee_inexact 0
		.amdhsa_exception_int_div_zero 0
	.end_amdhsa_kernel
	.section	.text._ZL22rocblas_sscal_2_kernelILi256E19rocblas_complex_numIfES1_fPS1_EviT2_lT3_lli,"axG",@progbits,_ZL22rocblas_sscal_2_kernelILi256E19rocblas_complex_numIfES1_fPS1_EviT2_lT3_lli,comdat
.Lfunc_end27:
	.size	_ZL22rocblas_sscal_2_kernelILi256E19rocblas_complex_numIfES1_fPS1_EviT2_lT3_lli, .Lfunc_end27-_ZL22rocblas_sscal_2_kernelILi256E19rocblas_complex_numIfES1_fPS1_EviT2_lT3_lli
                                        ; -- End function
	.set _ZL22rocblas_sscal_2_kernelILi256E19rocblas_complex_numIfES1_fPS1_EviT2_lT3_lli.num_vgpr, 18
	.set _ZL22rocblas_sscal_2_kernelILi256E19rocblas_complex_numIfES1_fPS1_EviT2_lT3_lli.num_agpr, 0
	.set _ZL22rocblas_sscal_2_kernelILi256E19rocblas_complex_numIfES1_fPS1_EviT2_lT3_lli.numbered_sgpr, 16
	.set _ZL22rocblas_sscal_2_kernelILi256E19rocblas_complex_numIfES1_fPS1_EviT2_lT3_lli.num_named_barrier, 0
	.set _ZL22rocblas_sscal_2_kernelILi256E19rocblas_complex_numIfES1_fPS1_EviT2_lT3_lli.private_seg_size, 0
	.set _ZL22rocblas_sscal_2_kernelILi256E19rocblas_complex_numIfES1_fPS1_EviT2_lT3_lli.uses_vcc, 1
	.set _ZL22rocblas_sscal_2_kernelILi256E19rocblas_complex_numIfES1_fPS1_EviT2_lT3_lli.uses_flat_scratch, 0
	.set _ZL22rocblas_sscal_2_kernelILi256E19rocblas_complex_numIfES1_fPS1_EviT2_lT3_lli.has_dyn_sized_stack, 0
	.set _ZL22rocblas_sscal_2_kernelILi256E19rocblas_complex_numIfES1_fPS1_EviT2_lT3_lli.has_recursion, 0
	.set _ZL22rocblas_sscal_2_kernelILi256E19rocblas_complex_numIfES1_fPS1_EviT2_lT3_lli.has_indirect_call, 0
	.section	.AMDGPU.csdata,"",@progbits
; Kernel info:
; codeLenInByte = 472
; TotalNumSgprs: 18
; NumVgprs: 18
; ScratchSize: 0
; MemoryBound: 0
; FloatMode: 240
; IeeeMode: 1
; LDSByteSize: 0 bytes/workgroup (compile time only)
; SGPRBlocks: 0
; VGPRBlocks: 1
; NumSGPRsForWavesPerEU: 18
; NumVGPRsForWavesPerEU: 18
; NamedBarCnt: 0
; Occupancy: 16
; WaveLimiterHint : 0
; COMPUTE_PGM_RSRC2:SCRATCH_EN: 0
; COMPUTE_PGM_RSRC2:USER_SGPR: 2
; COMPUTE_PGM_RSRC2:TRAP_HANDLER: 0
; COMPUTE_PGM_RSRC2:TGID_X_EN: 1
; COMPUTE_PGM_RSRC2:TGID_Y_EN: 0
; COMPUTE_PGM_RSRC2:TGID_Z_EN: 1
; COMPUTE_PGM_RSRC2:TIDIG_COMP_CNT: 0
	.section	.text._ZL19rocblas_scal_kernelIiLi256E19rocblas_complex_numIfES1_PKfPS1_EviT3_lT4_lT_li,"axG",@progbits,_ZL19rocblas_scal_kernelIiLi256E19rocblas_complex_numIfES1_PKfPS1_EviT3_lT4_lT_li,comdat
	.globl	_ZL19rocblas_scal_kernelIiLi256E19rocblas_complex_numIfES1_PKfPS1_EviT3_lT4_lT_li ; -- Begin function _ZL19rocblas_scal_kernelIiLi256E19rocblas_complex_numIfES1_PKfPS1_EviT3_lT4_lT_li
	.p2align	8
	.type	_ZL19rocblas_scal_kernelIiLi256E19rocblas_complex_numIfES1_PKfPS1_EviT3_lT4_lT_li,@function
_ZL19rocblas_scal_kernelIiLi256E19rocblas_complex_numIfES1_PKfPS1_EviT3_lT4_lT_li: ; @_ZL19rocblas_scal_kernelIiLi256E19rocblas_complex_numIfES1_PKfPS1_EviT3_lT4_lT_li
; %bb.0:
	s_load_b32 s14, s[0:1], 0x38
	s_bfe_u32 s2, ttmp6, 0x40014
	s_lshr_b32 s3, ttmp7, 16
	s_add_co_i32 s2, s2, 1
	s_bfe_u32 s4, ttmp6, 0x40008
	s_mul_i32 s2, s3, s2
	s_getreg_b32 s15, hwreg(HW_REG_IB_STS2, 6, 4)
	s_add_co_i32 s4, s4, s2
	s_cmp_eq_u32 s15, 0
	s_cselect_b32 s2, s3, s4
	s_mov_b32 s3, 0
	s_wait_kmcnt 0x0
	s_cmp_ge_u32 s2, s14
	s_cbranch_scc1 .LBB28_5
; %bb.1:
	s_clause 0x1
	s_load_b32 s16, s[0:1], 0x28
	s_load_b256 s[4:11], s[0:1], 0x8
	s_bfe_u32 s12, ttmp6, 0x4000c
	s_and_b32 s17, ttmp6, 15
	s_add_co_i32 s12, s12, 1
	v_mov_b32_e32 v1, 0
	s_mul_i32 s18, ttmp9, s12
	s_load_b64 s[12:13], s[0:1], 0x30
	s_add_co_i32 s18, s17, s18
	s_wait_kmcnt 0x0
	s_ashr_i32 s17, s16, 31
	s_lshl_b64 s[10:11], s[10:11], 3
	s_cmp_eq_u32 s15, 0
	s_cselect_b32 s15, ttmp9, s18
	s_delay_alu instid0(SALU_CYCLE_1) | instskip(SKIP_3) | instid1(VALU_DEP_1)
	v_lshl_or_b32 v0, s15, 8, v0
	s_load_b32 s15, s[0:1], 0x0
	s_wait_xcnt 0x0
	s_add_nc_u64 s[0:1], s[8:9], s[10:11]
	v_mul_u64_e32 v[2:3], s[16:17], v[0:1]
	s_wait_kmcnt 0x0
	v_cmp_gt_u32_e32 vcc_lo, s15, v0
	s_delay_alu instid0(VALU_DEP_2)
	v_lshl_add_u64 v[2:3], v[2:3], 3, s[0:1]
	s_branch .LBB28_3
.LBB28_2:                               ;   in Loop: Header=BB28_3 Depth=1
	s_wait_xcnt 0x0
	s_or_b32 exec_lo, exec_lo, s0
	s_add_co_i32 s2, s2, 0x10000
	s_delay_alu instid0(SALU_CYCLE_1)
	s_cmp_lt_u32 s2, s14
	s_cbranch_scc0 .LBB28_5
.LBB28_3:                               ; =>This Inner Loop Header: Depth=1
	s_mul_u64 s[0:1], s[6:7], s[2:3]
	s_delay_alu instid0(SALU_CYCLE_1) | instskip(NEXT) | instid1(SALU_CYCLE_1)
	s_lshl_b64 s[0:1], s[0:1], 2
	s_add_nc_u64 s[0:1], s[4:5], s[0:1]
	global_load_b32 v0, v1, s[0:1]
	s_wait_loadcnt 0x0
	s_wait_xcnt 0x0
	v_readfirstlane_b32 s0, v0
	s_cmp_neq_f32 s0, 1.0
	s_cselect_b32 s0, -1, 0
	s_delay_alu instid0(SALU_CYCLE_1) | instskip(NEXT) | instid1(SALU_CYCLE_1)
	s_and_b32 s1, vcc_lo, s0
	s_and_saveexec_b32 s0, s1
	s_cbranch_execz .LBB28_2
; %bb.4:                                ;   in Loop: Header=BB28_3 Depth=1
	s_mul_u64 s[8:9], s[12:13], s[2:3]
	s_delay_alu instid0(SALU_CYCLE_1) | instskip(SKIP_3) | instid1(VALU_DEP_1)
	v_lshl_add_u64 v[4:5], s[8:9], 3, v[2:3]
	global_load_b64 v[6:7], v[4:5], off
	s_wait_loadcnt 0x0
	v_pk_mul_f32 v[8:9], v[6:7], 0 op_sel_hi:[1,0]
	v_pk_fma_f32 v[10:11], v[0:1], v[6:7], v[8:9] op_sel:[0,0,1] op_sel_hi:[0,1,0]
	v_pk_fma_f32 v[6:7], v[0:1], v[6:7], v[8:9] op_sel:[0,0,1] op_sel_hi:[1,1,0] neg_lo:[0,0,1] neg_hi:[0,0,1]
	s_delay_alu instid0(VALU_DEP_2)
	v_mov_b32_e32 v7, v11
	global_store_b64 v[4:5], v[6:7], off
	s_branch .LBB28_2
.LBB28_5:
	s_endpgm
	.section	.rodata,"a",@progbits
	.p2align	6, 0x0
	.amdhsa_kernel _ZL19rocblas_scal_kernelIiLi256E19rocblas_complex_numIfES1_PKfPS1_EviT3_lT4_lT_li
		.amdhsa_group_segment_fixed_size 0
		.amdhsa_private_segment_fixed_size 0
		.amdhsa_kernarg_size 60
		.amdhsa_user_sgpr_count 2
		.amdhsa_user_sgpr_dispatch_ptr 0
		.amdhsa_user_sgpr_queue_ptr 0
		.amdhsa_user_sgpr_kernarg_segment_ptr 1
		.amdhsa_user_sgpr_dispatch_id 0
		.amdhsa_user_sgpr_kernarg_preload_length 0
		.amdhsa_user_sgpr_kernarg_preload_offset 0
		.amdhsa_user_sgpr_private_segment_size 0
		.amdhsa_wavefront_size32 1
		.amdhsa_uses_dynamic_stack 0
		.amdhsa_enable_private_segment 0
		.amdhsa_system_sgpr_workgroup_id_x 1
		.amdhsa_system_sgpr_workgroup_id_y 0
		.amdhsa_system_sgpr_workgroup_id_z 1
		.amdhsa_system_sgpr_workgroup_info 0
		.amdhsa_system_vgpr_workitem_id 0
		.amdhsa_next_free_vgpr 12
		.amdhsa_next_free_sgpr 19
		.amdhsa_named_barrier_count 0
		.amdhsa_reserve_vcc 1
		.amdhsa_float_round_mode_32 0
		.amdhsa_float_round_mode_16_64 0
		.amdhsa_float_denorm_mode_32 3
		.amdhsa_float_denorm_mode_16_64 3
		.amdhsa_fp16_overflow 0
		.amdhsa_memory_ordered 1
		.amdhsa_forward_progress 1
		.amdhsa_inst_pref_size 3
		.amdhsa_round_robin_scheduling 0
		.amdhsa_exception_fp_ieee_invalid_op 0
		.amdhsa_exception_fp_denorm_src 0
		.amdhsa_exception_fp_ieee_div_zero 0
		.amdhsa_exception_fp_ieee_overflow 0
		.amdhsa_exception_fp_ieee_underflow 0
		.amdhsa_exception_fp_ieee_inexact 0
		.amdhsa_exception_int_div_zero 0
	.end_amdhsa_kernel
	.section	.text._ZL19rocblas_scal_kernelIiLi256E19rocblas_complex_numIfES1_PKfPS1_EviT3_lT4_lT_li,"axG",@progbits,_ZL19rocblas_scal_kernelIiLi256E19rocblas_complex_numIfES1_PKfPS1_EviT3_lT4_lT_li,comdat
.Lfunc_end28:
	.size	_ZL19rocblas_scal_kernelIiLi256E19rocblas_complex_numIfES1_PKfPS1_EviT3_lT4_lT_li, .Lfunc_end28-_ZL19rocblas_scal_kernelIiLi256E19rocblas_complex_numIfES1_PKfPS1_EviT3_lT4_lT_li
                                        ; -- End function
	.set _ZL19rocblas_scal_kernelIiLi256E19rocblas_complex_numIfES1_PKfPS1_EviT3_lT4_lT_li.num_vgpr, 12
	.set _ZL19rocblas_scal_kernelIiLi256E19rocblas_complex_numIfES1_PKfPS1_EviT3_lT4_lT_li.num_agpr, 0
	.set _ZL19rocblas_scal_kernelIiLi256E19rocblas_complex_numIfES1_PKfPS1_EviT3_lT4_lT_li.numbered_sgpr, 19
	.set _ZL19rocblas_scal_kernelIiLi256E19rocblas_complex_numIfES1_PKfPS1_EviT3_lT4_lT_li.num_named_barrier, 0
	.set _ZL19rocblas_scal_kernelIiLi256E19rocblas_complex_numIfES1_PKfPS1_EviT3_lT4_lT_li.private_seg_size, 0
	.set _ZL19rocblas_scal_kernelIiLi256E19rocblas_complex_numIfES1_PKfPS1_EviT3_lT4_lT_li.uses_vcc, 1
	.set _ZL19rocblas_scal_kernelIiLi256E19rocblas_complex_numIfES1_PKfPS1_EviT3_lT4_lT_li.uses_flat_scratch, 0
	.set _ZL19rocblas_scal_kernelIiLi256E19rocblas_complex_numIfES1_PKfPS1_EviT3_lT4_lT_li.has_dyn_sized_stack, 0
	.set _ZL19rocblas_scal_kernelIiLi256E19rocblas_complex_numIfES1_PKfPS1_EviT3_lT4_lT_li.has_recursion, 0
	.set _ZL19rocblas_scal_kernelIiLi256E19rocblas_complex_numIfES1_PKfPS1_EviT3_lT4_lT_li.has_indirect_call, 0
	.section	.AMDGPU.csdata,"",@progbits
; Kernel info:
; codeLenInByte = 376
; TotalNumSgprs: 21
; NumVgprs: 12
; ScratchSize: 0
; MemoryBound: 0
; FloatMode: 240
; IeeeMode: 1
; LDSByteSize: 0 bytes/workgroup (compile time only)
; SGPRBlocks: 0
; VGPRBlocks: 0
; NumSGPRsForWavesPerEU: 21
; NumVGPRsForWavesPerEU: 12
; NamedBarCnt: 0
; Occupancy: 16
; WaveLimiterHint : 0
; COMPUTE_PGM_RSRC2:SCRATCH_EN: 0
; COMPUTE_PGM_RSRC2:USER_SGPR: 2
; COMPUTE_PGM_RSRC2:TRAP_HANDLER: 0
; COMPUTE_PGM_RSRC2:TGID_X_EN: 1
; COMPUTE_PGM_RSRC2:TGID_Y_EN: 0
; COMPUTE_PGM_RSRC2:TGID_Z_EN: 1
; COMPUTE_PGM_RSRC2:TIDIG_COMP_CNT: 0
	.section	.text._ZL19rocblas_scal_kernelIiLi256E19rocblas_complex_numIfES1_fPS1_EviT3_lT4_lT_li,"axG",@progbits,_ZL19rocblas_scal_kernelIiLi256E19rocblas_complex_numIfES1_fPS1_EviT3_lT4_lT_li,comdat
	.globl	_ZL19rocblas_scal_kernelIiLi256E19rocblas_complex_numIfES1_fPS1_EviT3_lT4_lT_li ; -- Begin function _ZL19rocblas_scal_kernelIiLi256E19rocblas_complex_numIfES1_fPS1_EviT3_lT4_lT_li
	.p2align	8
	.type	_ZL19rocblas_scal_kernelIiLi256E19rocblas_complex_numIfES1_fPS1_EviT3_lT4_lT_li,@function
_ZL19rocblas_scal_kernelIiLi256E19rocblas_complex_numIfES1_fPS1_EviT3_lT4_lT_li: ; @_ZL19rocblas_scal_kernelIiLi256E19rocblas_complex_numIfES1_fPS1_EviT3_lT4_lT_li
; %bb.0:
	s_load_b32 s6, s[0:1], 0x30
	s_bfe_u32 s2, ttmp6, 0x40014
	s_lshr_b32 s3, ttmp7, 16
	s_add_co_i32 s2, s2, 1
	s_bfe_u32 s4, ttmp6, 0x40008
	s_mul_i32 s2, s3, s2
	s_getreg_b32 s7, hwreg(HW_REG_IB_STS2, 6, 4)
	s_add_co_i32 s4, s4, s2
	s_cmp_eq_u32 s7, 0
	s_cselect_b32 s2, s3, s4
	s_mov_b32 s3, 0
	s_wait_kmcnt 0x0
	s_cmp_ge_u32 s2, s6
	s_cbranch_scc1 .LBB29_5
; %bb.1:
	s_clause 0x1
	s_load_b32 s12, s[0:1], 0x20
	s_load_b128 s[8:11], s[0:1], 0x10
	s_bfe_u32 s4, ttmp6, 0x4000c
	s_and_b32 s13, ttmp6, 15
	s_add_co_i32 s4, s4, 1
	v_mov_b32_e32 v1, 0
	s_mul_i32 s14, ttmp9, s4
	s_load_b64 s[4:5], s[0:1], 0x28
	s_add_co_i32 s14, s13, s14
	s_wait_xcnt 0x0
	s_load_b64 s[0:1], s[0:1], 0x0
	s_wait_kmcnt 0x0
	s_ashr_i32 s13, s12, 31
	s_lshl_b64 s[10:11], s[10:11], 3
	s_cmp_eq_u32 s7, 0
	s_add_nc_u64 s[8:9], s[8:9], s[10:11]
	s_cselect_b32 s7, ttmp9, s14
	s_delay_alu instid0(SALU_CYCLE_1) | instskip(SKIP_1) | instid1(VALU_DEP_1)
	v_lshl_or_b32 v0, s7, 8, v0
	s_cmp_neq_f32 s1, 1.0
	v_mul_u64_e32 v[2:3], s[12:13], v[0:1]
	v_cmp_gt_u32_e32 vcc_lo, s0, v0
	s_cselect_b32 s0, -1, 0
	s_delay_alu instid0(SALU_CYCLE_1) | instskip(SKIP_1) | instid1(VALU_DEP_2)
	s_and_b32 s7, vcc_lo, s0
	s_mov_b32 s0, s1
	v_lshl_add_u64 v[0:1], v[2:3], 3, s[8:9]
	s_branch .LBB29_3
.LBB29_2:                               ;   in Loop: Header=BB29_3 Depth=1
	s_wait_xcnt 0x0
	s_or_b32 exec_lo, exec_lo, s8
	s_add_co_i32 s2, s2, 0x10000
	s_delay_alu instid0(SALU_CYCLE_1)
	s_cmp_lt_u32 s2, s6
	s_cbranch_scc0 .LBB29_5
.LBB29_3:                               ; =>This Inner Loop Header: Depth=1
	s_and_saveexec_b32 s8, s7
	s_cbranch_execz .LBB29_2
; %bb.4:                                ;   in Loop: Header=BB29_3 Depth=1
	s_mul_u64 s[10:11], s[4:5], s[2:3]
	v_mov_b64_e32 v[8:9], s[0:1]
	v_lshl_add_u64 v[2:3], s[10:11], 3, v[0:1]
	global_load_b64 v[4:5], v[2:3], off
	s_wait_loadcnt 0x0
	v_pk_mul_f32 v[6:7], v[4:5], 0 op_sel_hi:[1,0]
	s_delay_alu instid0(VALU_DEP_1) | instskip(SKIP_1) | instid1(VALU_DEP_2)
	v_pk_fma_f32 v[10:11], v[8:9], v[4:5], v[6:7] op_sel:[0,0,1] op_sel_hi:[1,1,0]
	v_pk_fma_f32 v[4:5], v[8:9], v[4:5], v[6:7] op_sel:[0,0,1] op_sel_hi:[1,1,0] neg_lo:[0,0,1] neg_hi:[0,0,1]
	v_mov_b32_e32 v5, v11
	global_store_b64 v[2:3], v[4:5], off
	s_branch .LBB29_2
.LBB29_5:
	s_endpgm
	.section	.rodata,"a",@progbits
	.p2align	6, 0x0
	.amdhsa_kernel _ZL19rocblas_scal_kernelIiLi256E19rocblas_complex_numIfES1_fPS1_EviT3_lT4_lT_li
		.amdhsa_group_segment_fixed_size 0
		.amdhsa_private_segment_fixed_size 0
		.amdhsa_kernarg_size 52
		.amdhsa_user_sgpr_count 2
		.amdhsa_user_sgpr_dispatch_ptr 0
		.amdhsa_user_sgpr_queue_ptr 0
		.amdhsa_user_sgpr_kernarg_segment_ptr 1
		.amdhsa_user_sgpr_dispatch_id 0
		.amdhsa_user_sgpr_kernarg_preload_length 0
		.amdhsa_user_sgpr_kernarg_preload_offset 0
		.amdhsa_user_sgpr_private_segment_size 0
		.amdhsa_wavefront_size32 1
		.amdhsa_uses_dynamic_stack 0
		.amdhsa_enable_private_segment 0
		.amdhsa_system_sgpr_workgroup_id_x 1
		.amdhsa_system_sgpr_workgroup_id_y 0
		.amdhsa_system_sgpr_workgroup_id_z 1
		.amdhsa_system_sgpr_workgroup_info 0
		.amdhsa_system_vgpr_workitem_id 0
		.amdhsa_next_free_vgpr 12
		.amdhsa_next_free_sgpr 15
		.amdhsa_named_barrier_count 0
		.amdhsa_reserve_vcc 1
		.amdhsa_float_round_mode_32 0
		.amdhsa_float_round_mode_16_64 0
		.amdhsa_float_denorm_mode_32 3
		.amdhsa_float_denorm_mode_16_64 3
		.amdhsa_fp16_overflow 0
		.amdhsa_memory_ordered 1
		.amdhsa_forward_progress 1
		.amdhsa_inst_pref_size 3
		.amdhsa_round_robin_scheduling 0
		.amdhsa_exception_fp_ieee_invalid_op 0
		.amdhsa_exception_fp_denorm_src 0
		.amdhsa_exception_fp_ieee_div_zero 0
		.amdhsa_exception_fp_ieee_overflow 0
		.amdhsa_exception_fp_ieee_underflow 0
		.amdhsa_exception_fp_ieee_inexact 0
		.amdhsa_exception_int_div_zero 0
	.end_amdhsa_kernel
	.section	.text._ZL19rocblas_scal_kernelIiLi256E19rocblas_complex_numIfES1_fPS1_EviT3_lT4_lT_li,"axG",@progbits,_ZL19rocblas_scal_kernelIiLi256E19rocblas_complex_numIfES1_fPS1_EviT3_lT4_lT_li,comdat
.Lfunc_end29:
	.size	_ZL19rocblas_scal_kernelIiLi256E19rocblas_complex_numIfES1_fPS1_EviT3_lT4_lT_li, .Lfunc_end29-_ZL19rocblas_scal_kernelIiLi256E19rocblas_complex_numIfES1_fPS1_EviT3_lT4_lT_li
                                        ; -- End function
	.set _ZL19rocblas_scal_kernelIiLi256E19rocblas_complex_numIfES1_fPS1_EviT3_lT4_lT_li.num_vgpr, 12
	.set _ZL19rocblas_scal_kernelIiLi256E19rocblas_complex_numIfES1_fPS1_EviT3_lT4_lT_li.num_agpr, 0
	.set _ZL19rocblas_scal_kernelIiLi256E19rocblas_complex_numIfES1_fPS1_EviT3_lT4_lT_li.numbered_sgpr, 15
	.set _ZL19rocblas_scal_kernelIiLi256E19rocblas_complex_numIfES1_fPS1_EviT3_lT4_lT_li.num_named_barrier, 0
	.set _ZL19rocblas_scal_kernelIiLi256E19rocblas_complex_numIfES1_fPS1_EviT3_lT4_lT_li.private_seg_size, 0
	.set _ZL19rocblas_scal_kernelIiLi256E19rocblas_complex_numIfES1_fPS1_EviT3_lT4_lT_li.uses_vcc, 1
	.set _ZL19rocblas_scal_kernelIiLi256E19rocblas_complex_numIfES1_fPS1_EviT3_lT4_lT_li.uses_flat_scratch, 0
	.set _ZL19rocblas_scal_kernelIiLi256E19rocblas_complex_numIfES1_fPS1_EviT3_lT4_lT_li.has_dyn_sized_stack, 0
	.set _ZL19rocblas_scal_kernelIiLi256E19rocblas_complex_numIfES1_fPS1_EviT3_lT4_lT_li.has_recursion, 0
	.set _ZL19rocblas_scal_kernelIiLi256E19rocblas_complex_numIfES1_fPS1_EviT3_lT4_lT_li.has_indirect_call, 0
	.section	.AMDGPU.csdata,"",@progbits
; Kernel info:
; codeLenInByte = 332
; TotalNumSgprs: 17
; NumVgprs: 12
; ScratchSize: 0
; MemoryBound: 0
; FloatMode: 240
; IeeeMode: 1
; LDSByteSize: 0 bytes/workgroup (compile time only)
; SGPRBlocks: 0
; VGPRBlocks: 0
; NumSGPRsForWavesPerEU: 17
; NumVGPRsForWavesPerEU: 12
; NamedBarCnt: 0
; Occupancy: 16
; WaveLimiterHint : 0
; COMPUTE_PGM_RSRC2:SCRATCH_EN: 0
; COMPUTE_PGM_RSRC2:USER_SGPR: 2
; COMPUTE_PGM_RSRC2:TRAP_HANDLER: 0
; COMPUTE_PGM_RSRC2:TGID_X_EN: 1
; COMPUTE_PGM_RSRC2:TGID_Y_EN: 0
; COMPUTE_PGM_RSRC2:TGID_Z_EN: 1
; COMPUTE_PGM_RSRC2:TIDIG_COMP_CNT: 0
	.section	.text._ZL19rocblas_scal_kernelIlLi256E19rocblas_complex_numIfES1_PKfPS1_EviT3_lT4_lT_li,"axG",@progbits,_ZL19rocblas_scal_kernelIlLi256E19rocblas_complex_numIfES1_PKfPS1_EviT3_lT4_lT_li,comdat
	.globl	_ZL19rocblas_scal_kernelIlLi256E19rocblas_complex_numIfES1_PKfPS1_EviT3_lT4_lT_li ; -- Begin function _ZL19rocblas_scal_kernelIlLi256E19rocblas_complex_numIfES1_PKfPS1_EviT3_lT4_lT_li
	.p2align	8
	.type	_ZL19rocblas_scal_kernelIlLi256E19rocblas_complex_numIfES1_PKfPS1_EviT3_lT4_lT_li,@function
_ZL19rocblas_scal_kernelIlLi256E19rocblas_complex_numIfES1_PKfPS1_EviT3_lT4_lT_li: ; @_ZL19rocblas_scal_kernelIlLi256E19rocblas_complex_numIfES1_PKfPS1_EviT3_lT4_lT_li
; %bb.0:
	s_load_b32 s16, s[0:1], 0x38
	s_bfe_u32 s2, ttmp6, 0x40014
	s_lshr_b32 s3, ttmp7, 16
	s_add_co_i32 s2, s2, 1
	s_bfe_u32 s4, ttmp6, 0x40008
	s_mul_i32 s2, s3, s2
	s_getreg_b32 s17, hwreg(HW_REG_IB_STS2, 6, 4)
	s_add_co_i32 s4, s4, s2
	s_cmp_eq_u32 s17, 0
	s_cselect_b32 s2, s3, s4
	s_mov_b32 s3, 0
	s_wait_kmcnt 0x0
	s_cmp_ge_u32 s2, s16
	s_cbranch_scc1 .LBB30_5
; %bb.1:
	s_clause 0x1
	s_load_b256 s[4:11], s[0:1], 0x8
	s_load_b128 s[12:15], s[0:1], 0x28
	s_bfe_u32 s18, ttmp6, 0x4000c
	s_and_b32 s19, ttmp6, 15
	s_add_co_i32 s18, s18, 1
	v_mov_b32_e32 v1, 0
	s_mul_i32 s18, ttmp9, s18
	s_delay_alu instid0(SALU_CYCLE_1) | instskip(SKIP_4) | instid1(SALU_CYCLE_1)
	s_add_co_i32 s19, s19, s18
	s_wait_kmcnt 0x0
	s_lshl_b64 s[10:11], s[10:11], 3
	s_cmp_eq_u32 s17, 0
	s_cselect_b32 s17, ttmp9, s19
	v_lshl_or_b32 v0, s17, 8, v0
	s_delay_alu instid0(VALU_DEP_1)
	v_mul_u64_e32 v[2:3], s[12:13], v[0:1]
	s_load_b32 s12, s[0:1], 0x0
	s_wait_xcnt 0x0
	s_add_nc_u64 s[0:1], s[8:9], s[10:11]
	s_wait_kmcnt 0x0
	v_cmp_gt_u32_e32 vcc_lo, s12, v0
	s_delay_alu instid0(VALU_DEP_2)
	v_lshl_add_u64 v[2:3], v[2:3], 3, s[0:1]
	s_branch .LBB30_3
.LBB30_2:                               ;   in Loop: Header=BB30_3 Depth=1
	s_wait_xcnt 0x0
	s_or_b32 exec_lo, exec_lo, s0
	s_add_co_i32 s2, s2, 0x10000
	s_delay_alu instid0(SALU_CYCLE_1)
	s_cmp_lt_u32 s2, s16
	s_cbranch_scc0 .LBB30_5
.LBB30_3:                               ; =>This Inner Loop Header: Depth=1
	s_mul_u64 s[0:1], s[6:7], s[2:3]
	s_delay_alu instid0(SALU_CYCLE_1) | instskip(NEXT) | instid1(SALU_CYCLE_1)
	s_lshl_b64 s[0:1], s[0:1], 2
	s_add_nc_u64 s[0:1], s[4:5], s[0:1]
	global_load_b32 v0, v1, s[0:1]
	s_wait_loadcnt 0x0
	s_wait_xcnt 0x0
	v_readfirstlane_b32 s0, v0
	s_cmp_neq_f32 s0, 1.0
	s_cselect_b32 s0, -1, 0
	s_delay_alu instid0(SALU_CYCLE_1) | instskip(NEXT) | instid1(SALU_CYCLE_1)
	s_and_b32 s1, vcc_lo, s0
	s_and_saveexec_b32 s0, s1
	s_cbranch_execz .LBB30_2
; %bb.4:                                ;   in Loop: Header=BB30_3 Depth=1
	s_mul_u64 s[8:9], s[14:15], s[2:3]
	s_delay_alu instid0(SALU_CYCLE_1) | instskip(SKIP_3) | instid1(VALU_DEP_1)
	v_lshl_add_u64 v[4:5], s[8:9], 3, v[2:3]
	global_load_b64 v[6:7], v[4:5], off
	s_wait_loadcnt 0x0
	v_pk_mul_f32 v[8:9], v[6:7], 0 op_sel_hi:[1,0]
	v_pk_fma_f32 v[10:11], v[0:1], v[6:7], v[8:9] op_sel:[0,0,1] op_sel_hi:[0,1,0]
	v_pk_fma_f32 v[6:7], v[0:1], v[6:7], v[8:9] op_sel:[0,0,1] op_sel_hi:[1,1,0] neg_lo:[0,0,1] neg_hi:[0,0,1]
	s_delay_alu instid0(VALU_DEP_2)
	v_mov_b32_e32 v7, v11
	global_store_b64 v[4:5], v[6:7], off
	s_branch .LBB30_2
.LBB30_5:
	s_endpgm
	.section	.rodata,"a",@progbits
	.p2align	6, 0x0
	.amdhsa_kernel _ZL19rocblas_scal_kernelIlLi256E19rocblas_complex_numIfES1_PKfPS1_EviT3_lT4_lT_li
		.amdhsa_group_segment_fixed_size 0
		.amdhsa_private_segment_fixed_size 0
		.amdhsa_kernarg_size 60
		.amdhsa_user_sgpr_count 2
		.amdhsa_user_sgpr_dispatch_ptr 0
		.amdhsa_user_sgpr_queue_ptr 0
		.amdhsa_user_sgpr_kernarg_segment_ptr 1
		.amdhsa_user_sgpr_dispatch_id 0
		.amdhsa_user_sgpr_kernarg_preload_length 0
		.amdhsa_user_sgpr_kernarg_preload_offset 0
		.amdhsa_user_sgpr_private_segment_size 0
		.amdhsa_wavefront_size32 1
		.amdhsa_uses_dynamic_stack 0
		.amdhsa_enable_private_segment 0
		.amdhsa_system_sgpr_workgroup_id_x 1
		.amdhsa_system_sgpr_workgroup_id_y 0
		.amdhsa_system_sgpr_workgroup_id_z 1
		.amdhsa_system_sgpr_workgroup_info 0
		.amdhsa_system_vgpr_workitem_id 0
		.amdhsa_next_free_vgpr 12
		.amdhsa_next_free_sgpr 20
		.amdhsa_named_barrier_count 0
		.amdhsa_reserve_vcc 1
		.amdhsa_float_round_mode_32 0
		.amdhsa_float_round_mode_16_64 0
		.amdhsa_float_denorm_mode_32 3
		.amdhsa_float_denorm_mode_16_64 3
		.amdhsa_fp16_overflow 0
		.amdhsa_memory_ordered 1
		.amdhsa_forward_progress 1
		.amdhsa_inst_pref_size 3
		.amdhsa_round_robin_scheduling 0
		.amdhsa_exception_fp_ieee_invalid_op 0
		.amdhsa_exception_fp_denorm_src 0
		.amdhsa_exception_fp_ieee_div_zero 0
		.amdhsa_exception_fp_ieee_overflow 0
		.amdhsa_exception_fp_ieee_underflow 0
		.amdhsa_exception_fp_ieee_inexact 0
		.amdhsa_exception_int_div_zero 0
	.end_amdhsa_kernel
	.section	.text._ZL19rocblas_scal_kernelIlLi256E19rocblas_complex_numIfES1_PKfPS1_EviT3_lT4_lT_li,"axG",@progbits,_ZL19rocblas_scal_kernelIlLi256E19rocblas_complex_numIfES1_PKfPS1_EviT3_lT4_lT_li,comdat
.Lfunc_end30:
	.size	_ZL19rocblas_scal_kernelIlLi256E19rocblas_complex_numIfES1_PKfPS1_EviT3_lT4_lT_li, .Lfunc_end30-_ZL19rocblas_scal_kernelIlLi256E19rocblas_complex_numIfES1_PKfPS1_EviT3_lT4_lT_li
                                        ; -- End function
	.set _ZL19rocblas_scal_kernelIlLi256E19rocblas_complex_numIfES1_PKfPS1_EviT3_lT4_lT_li.num_vgpr, 12
	.set _ZL19rocblas_scal_kernelIlLi256E19rocblas_complex_numIfES1_PKfPS1_EviT3_lT4_lT_li.num_agpr, 0
	.set _ZL19rocblas_scal_kernelIlLi256E19rocblas_complex_numIfES1_PKfPS1_EviT3_lT4_lT_li.numbered_sgpr, 20
	.set _ZL19rocblas_scal_kernelIlLi256E19rocblas_complex_numIfES1_PKfPS1_EviT3_lT4_lT_li.num_named_barrier, 0
	.set _ZL19rocblas_scal_kernelIlLi256E19rocblas_complex_numIfES1_PKfPS1_EviT3_lT4_lT_li.private_seg_size, 0
	.set _ZL19rocblas_scal_kernelIlLi256E19rocblas_complex_numIfES1_PKfPS1_EviT3_lT4_lT_li.uses_vcc, 1
	.set _ZL19rocblas_scal_kernelIlLi256E19rocblas_complex_numIfES1_PKfPS1_EviT3_lT4_lT_li.uses_flat_scratch, 0
	.set _ZL19rocblas_scal_kernelIlLi256E19rocblas_complex_numIfES1_PKfPS1_EviT3_lT4_lT_li.has_dyn_sized_stack, 0
	.set _ZL19rocblas_scal_kernelIlLi256E19rocblas_complex_numIfES1_PKfPS1_EviT3_lT4_lT_li.has_recursion, 0
	.set _ZL19rocblas_scal_kernelIlLi256E19rocblas_complex_numIfES1_PKfPS1_EviT3_lT4_lT_li.has_indirect_call, 0
	.section	.AMDGPU.csdata,"",@progbits
; Kernel info:
; codeLenInByte = 368
; TotalNumSgprs: 22
; NumVgprs: 12
; ScratchSize: 0
; MemoryBound: 0
; FloatMode: 240
; IeeeMode: 1
; LDSByteSize: 0 bytes/workgroup (compile time only)
; SGPRBlocks: 0
; VGPRBlocks: 0
; NumSGPRsForWavesPerEU: 22
; NumVGPRsForWavesPerEU: 12
; NamedBarCnt: 0
; Occupancy: 16
; WaveLimiterHint : 0
; COMPUTE_PGM_RSRC2:SCRATCH_EN: 0
; COMPUTE_PGM_RSRC2:USER_SGPR: 2
; COMPUTE_PGM_RSRC2:TRAP_HANDLER: 0
; COMPUTE_PGM_RSRC2:TGID_X_EN: 1
; COMPUTE_PGM_RSRC2:TGID_Y_EN: 0
; COMPUTE_PGM_RSRC2:TGID_Z_EN: 1
; COMPUTE_PGM_RSRC2:TIDIG_COMP_CNT: 0
	.section	.text._ZL19rocblas_scal_kernelIlLi256E19rocblas_complex_numIfES1_fPS1_EviT3_lT4_lT_li,"axG",@progbits,_ZL19rocblas_scal_kernelIlLi256E19rocblas_complex_numIfES1_fPS1_EviT3_lT4_lT_li,comdat
	.globl	_ZL19rocblas_scal_kernelIlLi256E19rocblas_complex_numIfES1_fPS1_EviT3_lT4_lT_li ; -- Begin function _ZL19rocblas_scal_kernelIlLi256E19rocblas_complex_numIfES1_fPS1_EviT3_lT4_lT_li
	.p2align	8
	.type	_ZL19rocblas_scal_kernelIlLi256E19rocblas_complex_numIfES1_fPS1_EviT3_lT4_lT_li,@function
_ZL19rocblas_scal_kernelIlLi256E19rocblas_complex_numIfES1_fPS1_EviT3_lT4_lT_li: ; @_ZL19rocblas_scal_kernelIlLi256E19rocblas_complex_numIfES1_fPS1_EviT3_lT4_lT_li
; %bb.0:
	s_load_b32 s12, s[0:1], 0x30
	s_bfe_u32 s2, ttmp6, 0x40014
	s_lshr_b32 s3, ttmp7, 16
	s_add_co_i32 s2, s2, 1
	s_bfe_u32 s4, ttmp6, 0x40008
	s_mul_i32 s2, s3, s2
	s_getreg_b32 s13, hwreg(HW_REG_IB_STS2, 6, 4)
	s_add_co_i32 s4, s4, s2
	s_cmp_eq_u32 s13, 0
	s_cselect_b32 s2, s3, s4
	s_mov_b32 s3, 0
	s_wait_kmcnt 0x0
	s_cmp_ge_u32 s2, s12
	s_cbranch_scc1 .LBB31_5
; %bb.1:
	s_load_b256 s[4:11], s[0:1], 0x10
	s_bfe_u32 s14, ttmp6, 0x4000c
	s_and_b32 s15, ttmp6, 15
	s_add_co_i32 s14, s14, 1
	v_mov_b32_e32 v1, 0
	s_mul_i32 s14, ttmp9, s14
	s_wait_xcnt 0x0
	s_load_b64 s[0:1], s[0:1], 0x0
	s_add_co_i32 s15, s15, s14
	s_wait_kmcnt 0x0
	s_lshl_b64 s[6:7], s[6:7], 3
	s_cmp_eq_u32 s13, 0
	s_add_nc_u64 s[4:5], s[4:5], s[6:7]
	s_cselect_b32 s13, ttmp9, s15
	s_delay_alu instid0(SALU_CYCLE_1) | instskip(SKIP_1) | instid1(VALU_DEP_1)
	v_lshl_or_b32 v0, s13, 8, v0
	s_cmp_neq_f32 s1, 1.0
	v_mul_u64_e32 v[2:3], s[8:9], v[0:1]
	v_cmp_gt_u32_e32 vcc_lo, s0, v0
	s_cselect_b32 s0, -1, 0
	s_delay_alu instid0(VALU_DEP_2)
	v_lshl_add_u64 v[0:1], v[2:3], 3, s[4:5]
	s_and_b32 s4, vcc_lo, s0
	s_mov_b32 s0, s1
	s_branch .LBB31_3
.LBB31_2:                               ;   in Loop: Header=BB31_3 Depth=1
	s_wait_xcnt 0x0
	s_or_b32 exec_lo, exec_lo, s5
	s_add_co_i32 s2, s2, 0x10000
	s_delay_alu instid0(SALU_CYCLE_1)
	s_cmp_lt_u32 s2, s12
	s_cbranch_scc0 .LBB31_5
.LBB31_3:                               ; =>This Inner Loop Header: Depth=1
	s_and_saveexec_b32 s5, s4
	s_cbranch_execz .LBB31_2
; %bb.4:                                ;   in Loop: Header=BB31_3 Depth=1
	s_mul_u64 s[6:7], s[10:11], s[2:3]
	v_mov_b64_e32 v[8:9], s[0:1]
	v_lshl_add_u64 v[2:3], s[6:7], 3, v[0:1]
	global_load_b64 v[4:5], v[2:3], off
	s_wait_loadcnt 0x0
	v_pk_mul_f32 v[6:7], v[4:5], 0 op_sel_hi:[1,0]
	s_delay_alu instid0(VALU_DEP_1) | instskip(SKIP_1) | instid1(VALU_DEP_2)
	v_pk_fma_f32 v[10:11], v[8:9], v[4:5], v[6:7] op_sel:[0,0,1] op_sel_hi:[1,1,0]
	v_pk_fma_f32 v[4:5], v[8:9], v[4:5], v[6:7] op_sel:[0,0,1] op_sel_hi:[1,1,0] neg_lo:[0,0,1] neg_hi:[0,0,1]
	v_mov_b32_e32 v5, v11
	global_store_b64 v[2:3], v[4:5], off
	s_branch .LBB31_2
.LBB31_5:
	s_endpgm
	.section	.rodata,"a",@progbits
	.p2align	6, 0x0
	.amdhsa_kernel _ZL19rocblas_scal_kernelIlLi256E19rocblas_complex_numIfES1_fPS1_EviT3_lT4_lT_li
		.amdhsa_group_segment_fixed_size 0
		.amdhsa_private_segment_fixed_size 0
		.amdhsa_kernarg_size 52
		.amdhsa_user_sgpr_count 2
		.amdhsa_user_sgpr_dispatch_ptr 0
		.amdhsa_user_sgpr_queue_ptr 0
		.amdhsa_user_sgpr_kernarg_segment_ptr 1
		.amdhsa_user_sgpr_dispatch_id 0
		.amdhsa_user_sgpr_kernarg_preload_length 0
		.amdhsa_user_sgpr_kernarg_preload_offset 0
		.amdhsa_user_sgpr_private_segment_size 0
		.amdhsa_wavefront_size32 1
		.amdhsa_uses_dynamic_stack 0
		.amdhsa_enable_private_segment 0
		.amdhsa_system_sgpr_workgroup_id_x 1
		.amdhsa_system_sgpr_workgroup_id_y 0
		.amdhsa_system_sgpr_workgroup_id_z 1
		.amdhsa_system_sgpr_workgroup_info 0
		.amdhsa_system_vgpr_workitem_id 0
		.amdhsa_next_free_vgpr 12
		.amdhsa_next_free_sgpr 16
		.amdhsa_named_barrier_count 0
		.amdhsa_reserve_vcc 1
		.amdhsa_float_round_mode_32 0
		.amdhsa_float_round_mode_16_64 0
		.amdhsa_float_denorm_mode_32 3
		.amdhsa_float_denorm_mode_16_64 3
		.amdhsa_fp16_overflow 0
		.amdhsa_memory_ordered 1
		.amdhsa_forward_progress 1
		.amdhsa_inst_pref_size 3
		.amdhsa_round_robin_scheduling 0
		.amdhsa_exception_fp_ieee_invalid_op 0
		.amdhsa_exception_fp_denorm_src 0
		.amdhsa_exception_fp_ieee_div_zero 0
		.amdhsa_exception_fp_ieee_overflow 0
		.amdhsa_exception_fp_ieee_underflow 0
		.amdhsa_exception_fp_ieee_inexact 0
		.amdhsa_exception_int_div_zero 0
	.end_amdhsa_kernel
	.section	.text._ZL19rocblas_scal_kernelIlLi256E19rocblas_complex_numIfES1_fPS1_EviT3_lT4_lT_li,"axG",@progbits,_ZL19rocblas_scal_kernelIlLi256E19rocblas_complex_numIfES1_fPS1_EviT3_lT4_lT_li,comdat
.Lfunc_end31:
	.size	_ZL19rocblas_scal_kernelIlLi256E19rocblas_complex_numIfES1_fPS1_EviT3_lT4_lT_li, .Lfunc_end31-_ZL19rocblas_scal_kernelIlLi256E19rocblas_complex_numIfES1_fPS1_EviT3_lT4_lT_li
                                        ; -- End function
	.set _ZL19rocblas_scal_kernelIlLi256E19rocblas_complex_numIfES1_fPS1_EviT3_lT4_lT_li.num_vgpr, 12
	.set _ZL19rocblas_scal_kernelIlLi256E19rocblas_complex_numIfES1_fPS1_EviT3_lT4_lT_li.num_agpr, 0
	.set _ZL19rocblas_scal_kernelIlLi256E19rocblas_complex_numIfES1_fPS1_EviT3_lT4_lT_li.numbered_sgpr, 16
	.set _ZL19rocblas_scal_kernelIlLi256E19rocblas_complex_numIfES1_fPS1_EviT3_lT4_lT_li.num_named_barrier, 0
	.set _ZL19rocblas_scal_kernelIlLi256E19rocblas_complex_numIfES1_fPS1_EviT3_lT4_lT_li.private_seg_size, 0
	.set _ZL19rocblas_scal_kernelIlLi256E19rocblas_complex_numIfES1_fPS1_EviT3_lT4_lT_li.uses_vcc, 1
	.set _ZL19rocblas_scal_kernelIlLi256E19rocblas_complex_numIfES1_fPS1_EviT3_lT4_lT_li.uses_flat_scratch, 0
	.set _ZL19rocblas_scal_kernelIlLi256E19rocblas_complex_numIfES1_fPS1_EviT3_lT4_lT_li.has_dyn_sized_stack, 0
	.set _ZL19rocblas_scal_kernelIlLi256E19rocblas_complex_numIfES1_fPS1_EviT3_lT4_lT_li.has_recursion, 0
	.set _ZL19rocblas_scal_kernelIlLi256E19rocblas_complex_numIfES1_fPS1_EviT3_lT4_lT_li.has_indirect_call, 0
	.section	.AMDGPU.csdata,"",@progbits
; Kernel info:
; codeLenInByte = 308
; TotalNumSgprs: 18
; NumVgprs: 12
; ScratchSize: 0
; MemoryBound: 0
; FloatMode: 240
; IeeeMode: 1
; LDSByteSize: 0 bytes/workgroup (compile time only)
; SGPRBlocks: 0
; VGPRBlocks: 0
; NumSGPRsForWavesPerEU: 18
; NumVGPRsForWavesPerEU: 12
; NamedBarCnt: 0
; Occupancy: 16
; WaveLimiterHint : 0
; COMPUTE_PGM_RSRC2:SCRATCH_EN: 0
; COMPUTE_PGM_RSRC2:USER_SGPR: 2
; COMPUTE_PGM_RSRC2:TRAP_HANDLER: 0
; COMPUTE_PGM_RSRC2:TGID_X_EN: 1
; COMPUTE_PGM_RSRC2:TGID_Y_EN: 0
; COMPUTE_PGM_RSRC2:TGID_Z_EN: 1
; COMPUTE_PGM_RSRC2:TIDIG_COMP_CNT: 0
	.section	.text._ZL22rocblas_sscal_2_kernelILi256E19rocblas_complex_numIdES1_PKdPS1_EviT2_lT3_lli,"axG",@progbits,_ZL22rocblas_sscal_2_kernelILi256E19rocblas_complex_numIdES1_PKdPS1_EviT2_lT3_lli,comdat
	.globl	_ZL22rocblas_sscal_2_kernelILi256E19rocblas_complex_numIdES1_PKdPS1_EviT2_lT3_lli ; -- Begin function _ZL22rocblas_sscal_2_kernelILi256E19rocblas_complex_numIdES1_PKdPS1_EviT2_lT3_lli
	.p2align	8
	.type	_ZL22rocblas_sscal_2_kernelILi256E19rocblas_complex_numIdES1_PKdPS1_EviT2_lT3_lli,@function
_ZL22rocblas_sscal_2_kernelILi256E19rocblas_complex_numIdES1_PKdPS1_EviT2_lT3_lli: ; @_ZL22rocblas_sscal_2_kernelILi256E19rocblas_complex_numIdES1_PKdPS1_EviT2_lT3_lli
; %bb.0:
	s_load_b32 s14, s[0:1], 0x30
	s_bfe_u32 s2, ttmp6, 0x40014
	s_lshr_b32 s3, ttmp7, 16
	s_add_co_i32 s2, s2, 1
	s_bfe_u32 s4, ttmp6, 0x40008
	s_mul_i32 s2, s3, s2
	s_getreg_b32 s12, hwreg(HW_REG_IB_STS2, 6, 4)
	s_add_co_i32 s4, s4, s2
	s_cmp_eq_u32 s12, 0
	s_cselect_b32 s2, s3, s4
	s_mov_b32 s3, 0
	s_wait_kmcnt 0x0
	s_cmp_ge_u32 s2, s14
	s_cbranch_scc1 .LBB32_9
; %bb.1:
	s_clause 0x2
	s_load_b128 s[4:7], s[0:1], 0x20
	s_load_b32 s13, s[0:1], 0x0
	s_load_b64 s[16:17], s[0:1], 0x18
	s_bfe_u32 s15, ttmp6, 0x4000c
	s_load_b128 s[8:11], s[0:1], 0x8
	s_add_co_i32 s15, s15, 1
	s_wait_xcnt 0x0
	s_and_b32 s0, ttmp6, 15
	s_mul_i32 s1, ttmp9, s15
	v_lshlrev_b32_e32 v0, 1, v0
	s_add_co_i32 s0, s0, s1
	s_wait_kmcnt 0x0
	s_lshl_b64 s[4:5], s[4:5], 4
	s_cmp_eq_u32 s12, 0
	s_add_nc_u64 s[4:5], s[16:17], s[4:5]
	s_cselect_b32 s0, ttmp9, s0
	s_bitcmp1_b32 s13, 0
	v_lshl_or_b32 v0, s0, 9, v0
	s_cselect_b32 s1, -1, 0
	s_add_co_i32 s0, s13, -1
	s_delay_alu instid0(VALU_DEP_1) | instskip(SKIP_1) | instid1(VALU_DEP_2)
	v_or_b32_e32 v1, 1, v0
	v_cmp_eq_u32_e32 vcc_lo, s0, v0
	v_cmp_gt_u32_e64 s0, s13, v1
	v_mov_b32_e32 v1, 0
	s_and_b32 s1, s1, vcc_lo
	s_branch .LBB32_4
.LBB32_2:                               ;   in Loop: Header=BB32_4 Depth=1
	s_wait_xcnt 0x0
	s_or_b32 exec_lo, exec_lo, s15
.LBB32_3:                               ;   in Loop: Header=BB32_4 Depth=1
	s_add_co_i32 s2, s2, 0x10000
	s_delay_alu instid0(SALU_CYCLE_1)
	s_cmp_lt_u32 s2, s14
	s_cbranch_scc0 .LBB32_9
.LBB32_4:                               ; =>This Inner Loop Header: Depth=1
	s_wait_xcnt 0x0
	s_mul_u64 s[12:13], s[10:11], s[2:3]
	s_delay_alu instid0(SALU_CYCLE_1) | instskip(NEXT) | instid1(SALU_CYCLE_1)
	s_lshl_b64 s[12:13], s[12:13], 3
	s_add_nc_u64 s[12:13], s[8:9], s[12:13]
	s_load_b64 s[12:13], s[12:13], 0x0
	s_wait_kmcnt 0x0
	v_cmp_eq_f64_e64 s15, s[12:13], 1.0
	s_and_b32 vcc_lo, exec_lo, s15
	s_cbranch_vccnz .LBB32_3
; %bb.5:                                ;   in Loop: Header=BB32_4 Depth=1
	s_mul_u64 s[16:17], s[6:7], s[2:3]
	s_delay_alu instid0(SALU_CYCLE_1) | instskip(NEXT) | instid1(SALU_CYCLE_1)
	s_lshl_b64 s[16:17], s[16:17], 4
	s_add_nc_u64 s[16:17], s[4:5], s[16:17]
	s_delay_alu instid0(SALU_CYCLE_1)
	v_lshl_add_u64 v[2:3], v[0:1], 4, s[16:17]
	s_and_saveexec_b32 s15, s0
	s_cbranch_execz .LBB32_7
; %bb.6:                                ;   in Loop: Header=BB32_4 Depth=1
	s_clause 0x1
	global_load_b128 v[4:7], v[2:3], off
	global_load_b128 v[8:11], v[2:3], off offset:16
	s_wait_loadcnt 0x1
	v_mul_f64_e32 v[14:15], 0, v[6:7]
	v_mul_f64_e32 v[12:13], s[12:13], v[6:7]
	s_wait_loadcnt 0x0
	v_mul_f64_e32 v[16:17], 0, v[10:11]
	v_mul_f64_e32 v[6:7], s[12:13], v[10:11]
	s_delay_alu instid0(VALU_DEP_4) | instskip(NEXT) | instid1(VALU_DEP_4)
	v_fma_f64 v[10:11], s[12:13], v[4:5], -v[14:15]
	v_fmac_f64_e32 v[12:13], 0, v[4:5]
	s_delay_alu instid0(VALU_DEP_4) | instskip(NEXT) | instid1(VALU_DEP_4)
	v_fma_f64 v[4:5], s[12:13], v[8:9], -v[16:17]
	v_fmac_f64_e32 v[6:7], 0, v[8:9]
	s_clause 0x1
	global_store_b128 v[2:3], v[10:13], off
	global_store_b128 v[2:3], v[4:7], off offset:16
.LBB32_7:                               ;   in Loop: Header=BB32_4 Depth=1
	s_wait_xcnt 0x0
	s_or_b32 exec_lo, exec_lo, s15
	s_and_saveexec_b32 s15, s1
	s_cbranch_execz .LBB32_2
; %bb.8:                                ;   in Loop: Header=BB32_4 Depth=1
	global_load_b128 v[4:7], v[2:3], off
	s_wait_loadcnt 0x0
	v_mul_f64_e32 v[10:11], 0, v[6:7]
	v_mul_f64_e32 v[8:9], s[12:13], v[6:7]
	s_delay_alu instid0(VALU_DEP_2) | instskip(NEXT) | instid1(VALU_DEP_2)
	v_fma_f64 v[6:7], s[12:13], v[4:5], -v[10:11]
	v_fmac_f64_e32 v[8:9], 0, v[4:5]
	global_store_b128 v[2:3], v[6:9], off
	s_branch .LBB32_2
.LBB32_9:
	s_endpgm
	.section	.rodata,"a",@progbits
	.p2align	6, 0x0
	.amdhsa_kernel _ZL22rocblas_sscal_2_kernelILi256E19rocblas_complex_numIdES1_PKdPS1_EviT2_lT3_lli
		.amdhsa_group_segment_fixed_size 0
		.amdhsa_private_segment_fixed_size 0
		.amdhsa_kernarg_size 52
		.amdhsa_user_sgpr_count 2
		.amdhsa_user_sgpr_dispatch_ptr 0
		.amdhsa_user_sgpr_queue_ptr 0
		.amdhsa_user_sgpr_kernarg_segment_ptr 1
		.amdhsa_user_sgpr_dispatch_id 0
		.amdhsa_user_sgpr_kernarg_preload_length 0
		.amdhsa_user_sgpr_kernarg_preload_offset 0
		.amdhsa_user_sgpr_private_segment_size 0
		.amdhsa_wavefront_size32 1
		.amdhsa_uses_dynamic_stack 0
		.amdhsa_enable_private_segment 0
		.amdhsa_system_sgpr_workgroup_id_x 1
		.amdhsa_system_sgpr_workgroup_id_y 0
		.amdhsa_system_sgpr_workgroup_id_z 1
		.amdhsa_system_sgpr_workgroup_info 0
		.amdhsa_system_vgpr_workitem_id 0
		.amdhsa_next_free_vgpr 18
		.amdhsa_next_free_sgpr 18
		.amdhsa_named_barrier_count 0
		.amdhsa_reserve_vcc 1
		.amdhsa_float_round_mode_32 0
		.amdhsa_float_round_mode_16_64 0
		.amdhsa_float_denorm_mode_32 3
		.amdhsa_float_denorm_mode_16_64 3
		.amdhsa_fp16_overflow 0
		.amdhsa_memory_ordered 1
		.amdhsa_forward_progress 1
		.amdhsa_inst_pref_size 4
		.amdhsa_round_robin_scheduling 0
		.amdhsa_exception_fp_ieee_invalid_op 0
		.amdhsa_exception_fp_denorm_src 0
		.amdhsa_exception_fp_ieee_div_zero 0
		.amdhsa_exception_fp_ieee_overflow 0
		.amdhsa_exception_fp_ieee_underflow 0
		.amdhsa_exception_fp_ieee_inexact 0
		.amdhsa_exception_int_div_zero 0
	.end_amdhsa_kernel
	.section	.text._ZL22rocblas_sscal_2_kernelILi256E19rocblas_complex_numIdES1_PKdPS1_EviT2_lT3_lli,"axG",@progbits,_ZL22rocblas_sscal_2_kernelILi256E19rocblas_complex_numIdES1_PKdPS1_EviT2_lT3_lli,comdat
.Lfunc_end32:
	.size	_ZL22rocblas_sscal_2_kernelILi256E19rocblas_complex_numIdES1_PKdPS1_EviT2_lT3_lli, .Lfunc_end32-_ZL22rocblas_sscal_2_kernelILi256E19rocblas_complex_numIdES1_PKdPS1_EviT2_lT3_lli
                                        ; -- End function
	.set _ZL22rocblas_sscal_2_kernelILi256E19rocblas_complex_numIdES1_PKdPS1_EviT2_lT3_lli.num_vgpr, 18
	.set _ZL22rocblas_sscal_2_kernelILi256E19rocblas_complex_numIdES1_PKdPS1_EviT2_lT3_lli.num_agpr, 0
	.set _ZL22rocblas_sscal_2_kernelILi256E19rocblas_complex_numIdES1_PKdPS1_EviT2_lT3_lli.numbered_sgpr, 18
	.set _ZL22rocblas_sscal_2_kernelILi256E19rocblas_complex_numIdES1_PKdPS1_EviT2_lT3_lli.num_named_barrier, 0
	.set _ZL22rocblas_sscal_2_kernelILi256E19rocblas_complex_numIdES1_PKdPS1_EviT2_lT3_lli.private_seg_size, 0
	.set _ZL22rocblas_sscal_2_kernelILi256E19rocblas_complex_numIdES1_PKdPS1_EviT2_lT3_lli.uses_vcc, 1
	.set _ZL22rocblas_sscal_2_kernelILi256E19rocblas_complex_numIdES1_PKdPS1_EviT2_lT3_lli.uses_flat_scratch, 0
	.set _ZL22rocblas_sscal_2_kernelILi256E19rocblas_complex_numIdES1_PKdPS1_EviT2_lT3_lli.has_dyn_sized_stack, 0
	.set _ZL22rocblas_sscal_2_kernelILi256E19rocblas_complex_numIdES1_PKdPS1_EviT2_lT3_lli.has_recursion, 0
	.set _ZL22rocblas_sscal_2_kernelILi256E19rocblas_complex_numIdES1_PKdPS1_EviT2_lT3_lli.has_indirect_call, 0
	.section	.AMDGPU.csdata,"",@progbits
; Kernel info:
; codeLenInByte = 508
; TotalNumSgprs: 20
; NumVgprs: 18
; ScratchSize: 0
; MemoryBound: 0
; FloatMode: 240
; IeeeMode: 1
; LDSByteSize: 0 bytes/workgroup (compile time only)
; SGPRBlocks: 0
; VGPRBlocks: 1
; NumSGPRsForWavesPerEU: 20
; NumVGPRsForWavesPerEU: 18
; NamedBarCnt: 0
; Occupancy: 16
; WaveLimiterHint : 0
; COMPUTE_PGM_RSRC2:SCRATCH_EN: 0
; COMPUTE_PGM_RSRC2:USER_SGPR: 2
; COMPUTE_PGM_RSRC2:TRAP_HANDLER: 0
; COMPUTE_PGM_RSRC2:TGID_X_EN: 1
; COMPUTE_PGM_RSRC2:TGID_Y_EN: 0
; COMPUTE_PGM_RSRC2:TGID_Z_EN: 1
; COMPUTE_PGM_RSRC2:TIDIG_COMP_CNT: 0
	.section	.text._ZL22rocblas_sscal_2_kernelILi256E19rocblas_complex_numIdES1_dPS1_EviT2_lT3_lli,"axG",@progbits,_ZL22rocblas_sscal_2_kernelILi256E19rocblas_complex_numIdES1_dPS1_EviT2_lT3_lli,comdat
	.globl	_ZL22rocblas_sscal_2_kernelILi256E19rocblas_complex_numIdES1_dPS1_EviT2_lT3_lli ; -- Begin function _ZL22rocblas_sscal_2_kernelILi256E19rocblas_complex_numIdES1_dPS1_EviT2_lT3_lli
	.p2align	8
	.type	_ZL22rocblas_sscal_2_kernelILi256E19rocblas_complex_numIdES1_dPS1_EviT2_lT3_lli,@function
_ZL22rocblas_sscal_2_kernelILi256E19rocblas_complex_numIdES1_dPS1_EviT2_lT3_lli: ; @_ZL22rocblas_sscal_2_kernelILi256E19rocblas_complex_numIdES1_dPS1_EviT2_lT3_lli
; %bb.0:
	s_load_b32 s10, s[0:1], 0x30
	s_bfe_u32 s2, ttmp6, 0x40014
	s_lshr_b32 s3, ttmp7, 16
	s_add_co_i32 s2, s2, 1
	s_bfe_u32 s4, ttmp6, 0x40008
	s_mul_i32 s2, s3, s2
	s_getreg_b32 s11, hwreg(HW_REG_IB_STS2, 6, 4)
	s_add_co_i32 s4, s4, s2
	s_cmp_eq_u32 s11, 0
	s_cselect_b32 s2, s3, s4
	s_mov_b32 s3, 0
	s_wait_kmcnt 0x0
	s_cmp_ge_u32 s2, s10
	s_cbranch_scc1 .LBB33_9
; %bb.1:
	s_clause 0x3
	s_load_b128 s[4:7], s[0:1], 0x20
	s_load_b32 s14, s[0:1], 0x0
	s_load_b64 s[12:13], s[0:1], 0x18
	s_load_b64 s[8:9], s[0:1], 0x8
	s_bfe_u32 s15, ttmp6, 0x4000c
	s_wait_xcnt 0x0
	s_and_b32 s0, ttmp6, 15
	s_add_co_i32 s15, s15, 1
	v_dual_mov_b32 v1, 0 :: v_dual_lshlrev_b32 v0, 1, v0
	s_mul_i32 s1, ttmp9, s15
	s_delay_alu instid0(SALU_CYCLE_1)
	s_add_co_i32 s0, s0, s1
	s_wait_kmcnt 0x0
	s_lshl_b64 s[4:5], s[4:5], 4
	s_cmp_eq_u32 s11, 0
	v_cmp_neq_f64_e64 s1, s[8:9], 1.0
	s_cselect_b32 s0, ttmp9, s0
	s_bitcmp1_b32 s14, 0
	v_lshl_or_b32 v0, s0, 9, v0
	s_cselect_b32 s11, -1, 0
	s_add_co_i32 s0, s14, -1
	s_add_nc_u64 s[4:5], s[12:13], s[4:5]
	s_delay_alu instid0(VALU_DEP_1) | instskip(SKIP_1) | instid1(VALU_DEP_2)
	v_or_b32_e32 v2, 1, v0
	v_cmp_eq_u32_e32 vcc_lo, s0, v0
	v_cmp_gt_u32_e64 s0, s14, v2
	s_and_b32 s11, s11, vcc_lo
	s_branch .LBB33_4
.LBB33_2:                               ;   in Loop: Header=BB33_4 Depth=1
	s_wait_xcnt 0x0
	s_or_b32 exec_lo, exec_lo, s12
.LBB33_3:                               ;   in Loop: Header=BB33_4 Depth=1
	s_add_co_i32 s2, s2, 0x10000
	s_delay_alu instid0(SALU_CYCLE_1)
	s_cmp_lt_u32 s2, s10
	s_cbranch_scc0 .LBB33_9
.LBB33_4:                               ; =>This Inner Loop Header: Depth=1
	s_and_not1_b32 vcc_lo, exec_lo, s1
	s_cbranch_vccnz .LBB33_3
; %bb.5:                                ;   in Loop: Header=BB33_4 Depth=1
	s_mul_u64 s[12:13], s[6:7], s[2:3]
	s_delay_alu instid0(SALU_CYCLE_1) | instskip(NEXT) | instid1(SALU_CYCLE_1)
	s_lshl_b64 s[12:13], s[12:13], 4
	s_add_nc_u64 s[12:13], s[4:5], s[12:13]
	s_delay_alu instid0(SALU_CYCLE_1)
	v_lshl_add_u64 v[2:3], v[0:1], 4, s[12:13]
	s_and_saveexec_b32 s12, s0
	s_cbranch_execz .LBB33_7
; %bb.6:                                ;   in Loop: Header=BB33_4 Depth=1
	s_clause 0x1
	global_load_b128 v[4:7], v[2:3], off
	global_load_b128 v[8:11], v[2:3], off offset:16
	s_wait_loadcnt 0x1
	v_mul_f64_e32 v[14:15], 0, v[6:7]
	v_mul_f64_e32 v[12:13], s[8:9], v[6:7]
	s_wait_loadcnt 0x0
	v_mul_f64_e32 v[16:17], 0, v[10:11]
	v_mul_f64_e32 v[6:7], s[8:9], v[10:11]
	s_delay_alu instid0(VALU_DEP_4) | instskip(NEXT) | instid1(VALU_DEP_4)
	v_fma_f64 v[10:11], s[8:9], v[4:5], -v[14:15]
	v_fmac_f64_e32 v[12:13], 0, v[4:5]
	s_delay_alu instid0(VALU_DEP_4) | instskip(NEXT) | instid1(VALU_DEP_4)
	v_fma_f64 v[4:5], s[8:9], v[8:9], -v[16:17]
	v_fmac_f64_e32 v[6:7], 0, v[8:9]
	s_clause 0x1
	global_store_b128 v[2:3], v[10:13], off
	global_store_b128 v[2:3], v[4:7], off offset:16
.LBB33_7:                               ;   in Loop: Header=BB33_4 Depth=1
	s_wait_xcnt 0x0
	s_or_b32 exec_lo, exec_lo, s12
	s_and_saveexec_b32 s12, s11
	s_cbranch_execz .LBB33_2
; %bb.8:                                ;   in Loop: Header=BB33_4 Depth=1
	global_load_b128 v[4:7], v[2:3], off
	s_wait_loadcnt 0x0
	v_mul_f64_e32 v[10:11], 0, v[6:7]
	v_mul_f64_e32 v[8:9], s[8:9], v[6:7]
	s_delay_alu instid0(VALU_DEP_2) | instskip(NEXT) | instid1(VALU_DEP_2)
	v_fma_f64 v[6:7], s[8:9], v[4:5], -v[10:11]
	v_fmac_f64_e32 v[8:9], 0, v[4:5]
	global_store_b128 v[2:3], v[6:9], off
	s_branch .LBB33_2
.LBB33_9:
	s_endpgm
	.section	.rodata,"a",@progbits
	.p2align	6, 0x0
	.amdhsa_kernel _ZL22rocblas_sscal_2_kernelILi256E19rocblas_complex_numIdES1_dPS1_EviT2_lT3_lli
		.amdhsa_group_segment_fixed_size 0
		.amdhsa_private_segment_fixed_size 0
		.amdhsa_kernarg_size 52
		.amdhsa_user_sgpr_count 2
		.amdhsa_user_sgpr_dispatch_ptr 0
		.amdhsa_user_sgpr_queue_ptr 0
		.amdhsa_user_sgpr_kernarg_segment_ptr 1
		.amdhsa_user_sgpr_dispatch_id 0
		.amdhsa_user_sgpr_kernarg_preload_length 0
		.amdhsa_user_sgpr_kernarg_preload_offset 0
		.amdhsa_user_sgpr_private_segment_size 0
		.amdhsa_wavefront_size32 1
		.amdhsa_uses_dynamic_stack 0
		.amdhsa_enable_private_segment 0
		.amdhsa_system_sgpr_workgroup_id_x 1
		.amdhsa_system_sgpr_workgroup_id_y 0
		.amdhsa_system_sgpr_workgroup_id_z 1
		.amdhsa_system_sgpr_workgroup_info 0
		.amdhsa_system_vgpr_workitem_id 0
		.amdhsa_next_free_vgpr 18
		.amdhsa_next_free_sgpr 16
		.amdhsa_named_barrier_count 0
		.amdhsa_reserve_vcc 1
		.amdhsa_float_round_mode_32 0
		.amdhsa_float_round_mode_16_64 0
		.amdhsa_float_denorm_mode_32 3
		.amdhsa_float_denorm_mode_16_64 3
		.amdhsa_fp16_overflow 0
		.amdhsa_memory_ordered 1
		.amdhsa_forward_progress 1
		.amdhsa_inst_pref_size 4
		.amdhsa_round_robin_scheduling 0
		.amdhsa_exception_fp_ieee_invalid_op 0
		.amdhsa_exception_fp_denorm_src 0
		.amdhsa_exception_fp_ieee_div_zero 0
		.amdhsa_exception_fp_ieee_overflow 0
		.amdhsa_exception_fp_ieee_underflow 0
		.amdhsa_exception_fp_ieee_inexact 0
		.amdhsa_exception_int_div_zero 0
	.end_amdhsa_kernel
	.section	.text._ZL22rocblas_sscal_2_kernelILi256E19rocblas_complex_numIdES1_dPS1_EviT2_lT3_lli,"axG",@progbits,_ZL22rocblas_sscal_2_kernelILi256E19rocblas_complex_numIdES1_dPS1_EviT2_lT3_lli,comdat
.Lfunc_end33:
	.size	_ZL22rocblas_sscal_2_kernelILi256E19rocblas_complex_numIdES1_dPS1_EviT2_lT3_lli, .Lfunc_end33-_ZL22rocblas_sscal_2_kernelILi256E19rocblas_complex_numIdES1_dPS1_EviT2_lT3_lli
                                        ; -- End function
	.set _ZL22rocblas_sscal_2_kernelILi256E19rocblas_complex_numIdES1_dPS1_EviT2_lT3_lli.num_vgpr, 18
	.set _ZL22rocblas_sscal_2_kernelILi256E19rocblas_complex_numIdES1_dPS1_EviT2_lT3_lli.num_agpr, 0
	.set _ZL22rocblas_sscal_2_kernelILi256E19rocblas_complex_numIdES1_dPS1_EviT2_lT3_lli.numbered_sgpr, 16
	.set _ZL22rocblas_sscal_2_kernelILi256E19rocblas_complex_numIdES1_dPS1_EviT2_lT3_lli.num_named_barrier, 0
	.set _ZL22rocblas_sscal_2_kernelILi256E19rocblas_complex_numIdES1_dPS1_EviT2_lT3_lli.private_seg_size, 0
	.set _ZL22rocblas_sscal_2_kernelILi256E19rocblas_complex_numIdES1_dPS1_EviT2_lT3_lli.uses_vcc, 1
	.set _ZL22rocblas_sscal_2_kernelILi256E19rocblas_complex_numIdES1_dPS1_EviT2_lT3_lli.uses_flat_scratch, 0
	.set _ZL22rocblas_sscal_2_kernelILi256E19rocblas_complex_numIdES1_dPS1_EviT2_lT3_lli.has_dyn_sized_stack, 0
	.set _ZL22rocblas_sscal_2_kernelILi256E19rocblas_complex_numIdES1_dPS1_EviT2_lT3_lli.has_recursion, 0
	.set _ZL22rocblas_sscal_2_kernelILi256E19rocblas_complex_numIdES1_dPS1_EviT2_lT3_lli.has_indirect_call, 0
	.section	.AMDGPU.csdata,"",@progbits
; Kernel info:
; codeLenInByte = 480
; TotalNumSgprs: 18
; NumVgprs: 18
; ScratchSize: 0
; MemoryBound: 0
; FloatMode: 240
; IeeeMode: 1
; LDSByteSize: 0 bytes/workgroup (compile time only)
; SGPRBlocks: 0
; VGPRBlocks: 1
; NumSGPRsForWavesPerEU: 18
; NumVGPRsForWavesPerEU: 18
; NamedBarCnt: 0
; Occupancy: 16
; WaveLimiterHint : 0
; COMPUTE_PGM_RSRC2:SCRATCH_EN: 0
; COMPUTE_PGM_RSRC2:USER_SGPR: 2
; COMPUTE_PGM_RSRC2:TRAP_HANDLER: 0
; COMPUTE_PGM_RSRC2:TGID_X_EN: 1
; COMPUTE_PGM_RSRC2:TGID_Y_EN: 0
; COMPUTE_PGM_RSRC2:TGID_Z_EN: 1
; COMPUTE_PGM_RSRC2:TIDIG_COMP_CNT: 0
	.section	.text._ZL19rocblas_scal_kernelIiLi256E19rocblas_complex_numIdES1_PKdPS1_EviT3_lT4_lT_li,"axG",@progbits,_ZL19rocblas_scal_kernelIiLi256E19rocblas_complex_numIdES1_PKdPS1_EviT3_lT4_lT_li,comdat
	.globl	_ZL19rocblas_scal_kernelIiLi256E19rocblas_complex_numIdES1_PKdPS1_EviT3_lT4_lT_li ; -- Begin function _ZL19rocblas_scal_kernelIiLi256E19rocblas_complex_numIdES1_PKdPS1_EviT3_lT4_lT_li
	.p2align	8
	.type	_ZL19rocblas_scal_kernelIiLi256E19rocblas_complex_numIdES1_PKdPS1_EviT3_lT4_lT_li,@function
_ZL19rocblas_scal_kernelIiLi256E19rocblas_complex_numIdES1_PKdPS1_EviT3_lT4_lT_li: ; @_ZL19rocblas_scal_kernelIiLi256E19rocblas_complex_numIdES1_PKdPS1_EviT3_lT4_lT_li
; %bb.0:
	s_load_b32 s14, s[0:1], 0x38
	s_bfe_u32 s2, ttmp6, 0x40014
	s_lshr_b32 s3, ttmp7, 16
	s_add_co_i32 s2, s2, 1
	s_bfe_u32 s4, ttmp6, 0x40008
	s_mul_i32 s2, s3, s2
	s_getreg_b32 s15, hwreg(HW_REG_IB_STS2, 6, 4)
	s_add_co_i32 s4, s4, s2
	s_cmp_eq_u32 s15, 0
	s_cselect_b32 s2, s3, s4
	s_mov_b32 s3, 0
	s_wait_kmcnt 0x0
	s_cmp_ge_u32 s2, s14
	s_cbranch_scc1 .LBB34_5
; %bb.1:
	s_clause 0x1
	s_load_b32 s16, s[0:1], 0x28
	s_load_b256 s[4:11], s[0:1], 0x8
	s_bfe_u32 s12, ttmp6, 0x4000c
	s_and_b32 s17, ttmp6, 15
	s_add_co_i32 s12, s12, 1
	v_mov_b32_e32 v1, 0
	s_mul_i32 s18, ttmp9, s12
	s_load_b64 s[12:13], s[0:1], 0x30
	s_add_co_i32 s18, s17, s18
	s_wait_kmcnt 0x0
	s_ashr_i32 s17, s16, 31
	s_lshl_b64 s[10:11], s[10:11], 4
	s_cmp_eq_u32 s15, 0
	s_cselect_b32 s15, ttmp9, s18
	s_delay_alu instid0(SALU_CYCLE_1) | instskip(SKIP_3) | instid1(VALU_DEP_1)
	v_lshl_or_b32 v0, s15, 8, v0
	s_load_b32 s15, s[0:1], 0x0
	s_wait_xcnt 0x0
	s_add_nc_u64 s[0:1], s[8:9], s[10:11]
	v_mul_u64_e32 v[2:3], s[16:17], v[0:1]
	s_wait_kmcnt 0x0
	v_cmp_gt_u32_e32 vcc_lo, s15, v0
	s_delay_alu instid0(VALU_DEP_2)
	v_lshl_add_u64 v[2:3], v[2:3], 4, s[0:1]
	s_branch .LBB34_3
.LBB34_2:                               ;   in Loop: Header=BB34_3 Depth=1
	s_wait_xcnt 0x0
	s_or_b32 exec_lo, exec_lo, s0
	s_add_co_i32 s2, s2, 0x10000
	s_delay_alu instid0(SALU_CYCLE_1)
	s_cmp_lt_u32 s2, s14
	s_cbranch_scc0 .LBB34_5
.LBB34_3:                               ; =>This Inner Loop Header: Depth=1
	s_mul_u64 s[0:1], s[6:7], s[2:3]
	s_delay_alu instid0(SALU_CYCLE_1) | instskip(NEXT) | instid1(SALU_CYCLE_1)
	s_lshl_b64 s[0:1], s[0:1], 3
	s_add_nc_u64 s[0:1], s[4:5], s[0:1]
	global_load_b64 v[4:5], v1, s[0:1]
	s_wait_loadcnt 0x0
	s_wait_xcnt 0x0
	v_cmp_neq_f64_e64 s0, 1.0, v[4:5]
	s_and_b32 s1, vcc_lo, s0
	s_delay_alu instid0(SALU_CYCLE_1)
	s_and_saveexec_b32 s0, s1
	s_cbranch_execz .LBB34_2
; %bb.4:                                ;   in Loop: Header=BB34_3 Depth=1
	s_mul_u64 s[8:9], s[12:13], s[2:3]
	s_delay_alu instid0(SALU_CYCLE_1) | instskip(SKIP_4) | instid1(VALU_DEP_2)
	v_lshl_add_u64 v[12:13], s[8:9], 4, v[2:3]
	global_load_b128 v[6:9], v[12:13], off
	s_wait_loadcnt 0x0
	v_mul_f64_e32 v[14:15], 0, v[8:9]
	v_mul_f64_e32 v[10:11], v[4:5], v[8:9]
	v_fma_f64 v[8:9], v[4:5], v[6:7], -v[14:15]
	s_delay_alu instid0(VALU_DEP_2)
	v_fmac_f64_e32 v[10:11], 0, v[6:7]
	global_store_b128 v[12:13], v[8:11], off
	s_branch .LBB34_2
.LBB34_5:
	s_endpgm
	.section	.rodata,"a",@progbits
	.p2align	6, 0x0
	.amdhsa_kernel _ZL19rocblas_scal_kernelIiLi256E19rocblas_complex_numIdES1_PKdPS1_EviT3_lT4_lT_li
		.amdhsa_group_segment_fixed_size 0
		.amdhsa_private_segment_fixed_size 0
		.amdhsa_kernarg_size 60
		.amdhsa_user_sgpr_count 2
		.amdhsa_user_sgpr_dispatch_ptr 0
		.amdhsa_user_sgpr_queue_ptr 0
		.amdhsa_user_sgpr_kernarg_segment_ptr 1
		.amdhsa_user_sgpr_dispatch_id 0
		.amdhsa_user_sgpr_kernarg_preload_length 0
		.amdhsa_user_sgpr_kernarg_preload_offset 0
		.amdhsa_user_sgpr_private_segment_size 0
		.amdhsa_wavefront_size32 1
		.amdhsa_uses_dynamic_stack 0
		.amdhsa_enable_private_segment 0
		.amdhsa_system_sgpr_workgroup_id_x 1
		.amdhsa_system_sgpr_workgroup_id_y 0
		.amdhsa_system_sgpr_workgroup_id_z 1
		.amdhsa_system_sgpr_workgroup_info 0
		.amdhsa_system_vgpr_workitem_id 0
		.amdhsa_next_free_vgpr 16
		.amdhsa_next_free_sgpr 19
		.amdhsa_named_barrier_count 0
		.amdhsa_reserve_vcc 1
		.amdhsa_float_round_mode_32 0
		.amdhsa_float_round_mode_16_64 0
		.amdhsa_float_denorm_mode_32 3
		.amdhsa_float_denorm_mode_16_64 3
		.amdhsa_fp16_overflow 0
		.amdhsa_memory_ordered 1
		.amdhsa_forward_progress 1
		.amdhsa_inst_pref_size 3
		.amdhsa_round_robin_scheduling 0
		.amdhsa_exception_fp_ieee_invalid_op 0
		.amdhsa_exception_fp_denorm_src 0
		.amdhsa_exception_fp_ieee_div_zero 0
		.amdhsa_exception_fp_ieee_overflow 0
		.amdhsa_exception_fp_ieee_underflow 0
		.amdhsa_exception_fp_ieee_inexact 0
		.amdhsa_exception_int_div_zero 0
	.end_amdhsa_kernel
	.section	.text._ZL19rocblas_scal_kernelIiLi256E19rocblas_complex_numIdES1_PKdPS1_EviT3_lT4_lT_li,"axG",@progbits,_ZL19rocblas_scal_kernelIiLi256E19rocblas_complex_numIdES1_PKdPS1_EviT3_lT4_lT_li,comdat
.Lfunc_end34:
	.size	_ZL19rocblas_scal_kernelIiLi256E19rocblas_complex_numIdES1_PKdPS1_EviT3_lT4_lT_li, .Lfunc_end34-_ZL19rocblas_scal_kernelIiLi256E19rocblas_complex_numIdES1_PKdPS1_EviT3_lT4_lT_li
                                        ; -- End function
	.set _ZL19rocblas_scal_kernelIiLi256E19rocblas_complex_numIdES1_PKdPS1_EviT3_lT4_lT_li.num_vgpr, 16
	.set _ZL19rocblas_scal_kernelIiLi256E19rocblas_complex_numIdES1_PKdPS1_EviT3_lT4_lT_li.num_agpr, 0
	.set _ZL19rocblas_scal_kernelIiLi256E19rocblas_complex_numIdES1_PKdPS1_EviT3_lT4_lT_li.numbered_sgpr, 19
	.set _ZL19rocblas_scal_kernelIiLi256E19rocblas_complex_numIdES1_PKdPS1_EviT3_lT4_lT_li.num_named_barrier, 0
	.set _ZL19rocblas_scal_kernelIiLi256E19rocblas_complex_numIdES1_PKdPS1_EviT3_lT4_lT_li.private_seg_size, 0
	.set _ZL19rocblas_scal_kernelIiLi256E19rocblas_complex_numIdES1_PKdPS1_EviT3_lT4_lT_li.uses_vcc, 1
	.set _ZL19rocblas_scal_kernelIiLi256E19rocblas_complex_numIdES1_PKdPS1_EviT3_lT4_lT_li.uses_flat_scratch, 0
	.set _ZL19rocblas_scal_kernelIiLi256E19rocblas_complex_numIdES1_PKdPS1_EviT3_lT4_lT_li.has_dyn_sized_stack, 0
	.set _ZL19rocblas_scal_kernelIiLi256E19rocblas_complex_numIdES1_PKdPS1_EviT3_lT4_lT_li.has_recursion, 0
	.set _ZL19rocblas_scal_kernelIiLi256E19rocblas_complex_numIdES1_PKdPS1_EviT3_lT4_lT_li.has_indirect_call, 0
	.section	.AMDGPU.csdata,"",@progbits
; Kernel info:
; codeLenInByte = 364
; TotalNumSgprs: 21
; NumVgprs: 16
; ScratchSize: 0
; MemoryBound: 0
; FloatMode: 240
; IeeeMode: 1
; LDSByteSize: 0 bytes/workgroup (compile time only)
; SGPRBlocks: 0
; VGPRBlocks: 0
; NumSGPRsForWavesPerEU: 21
; NumVGPRsForWavesPerEU: 16
; NamedBarCnt: 0
; Occupancy: 16
; WaveLimiterHint : 0
; COMPUTE_PGM_RSRC2:SCRATCH_EN: 0
; COMPUTE_PGM_RSRC2:USER_SGPR: 2
; COMPUTE_PGM_RSRC2:TRAP_HANDLER: 0
; COMPUTE_PGM_RSRC2:TGID_X_EN: 1
; COMPUTE_PGM_RSRC2:TGID_Y_EN: 0
; COMPUTE_PGM_RSRC2:TGID_Z_EN: 1
; COMPUTE_PGM_RSRC2:TIDIG_COMP_CNT: 0
	.section	.text._ZL19rocblas_scal_kernelIiLi256E19rocblas_complex_numIdES1_dPS1_EviT3_lT4_lT_li,"axG",@progbits,_ZL19rocblas_scal_kernelIiLi256E19rocblas_complex_numIdES1_dPS1_EviT3_lT4_lT_li,comdat
	.globl	_ZL19rocblas_scal_kernelIiLi256E19rocblas_complex_numIdES1_dPS1_EviT3_lT4_lT_li ; -- Begin function _ZL19rocblas_scal_kernelIiLi256E19rocblas_complex_numIdES1_dPS1_EviT3_lT4_lT_li
	.p2align	8
	.type	_ZL19rocblas_scal_kernelIiLi256E19rocblas_complex_numIdES1_dPS1_EviT3_lT4_lT_li,@function
_ZL19rocblas_scal_kernelIiLi256E19rocblas_complex_numIdES1_dPS1_EviT3_lT4_lT_li: ; @_ZL19rocblas_scal_kernelIiLi256E19rocblas_complex_numIdES1_dPS1_EviT3_lT4_lT_li
; %bb.0:
	s_load_b32 s8, s[0:1], 0x38
	s_bfe_u32 s2, ttmp6, 0x40014
	s_lshr_b32 s3, ttmp7, 16
	s_add_co_i32 s2, s2, 1
	s_bfe_u32 s4, ttmp6, 0x40008
	s_mul_i32 s2, s3, s2
	s_getreg_b32 s6, hwreg(HW_REG_IB_STS2, 6, 4)
	s_add_co_i32 s4, s4, s2
	s_cmp_eq_u32 s6, 0
	s_cselect_b32 s2, s3, s4
	s_mov_b32 s3, 0
	s_wait_kmcnt 0x0
	s_cmp_ge_u32 s2, s8
	s_cbranch_scc1 .LBB35_5
; %bb.1:
	s_clause 0x2
	s_load_b32 s10, s[0:1], 0x28
	s_load_b128 s[12:15], s[0:1], 0x18
	s_load_b64 s[4:5], s[0:1], 0x8
	s_bfe_u32 s7, ttmp6, 0x4000c
	s_and_b32 s9, ttmp6, 15
	s_add_co_i32 s7, s7, 1
	v_mov_b32_e32 v1, 0
	s_mul_i32 s7, ttmp9, s7
	s_delay_alu instid0(SALU_CYCLE_1)
	s_add_co_i32 s9, s9, s7
	s_wait_kmcnt 0x0
	s_ashr_i32 s11, s10, 31
	s_lshl_b64 s[14:15], s[14:15], 4
	s_cmp_eq_u32 s6, 0
	s_cselect_b32 s6, ttmp9, s9
	v_cmp_neq_f64_e64 s9, s[4:5], 1.0
	v_lshl_or_b32 v0, s6, 8, v0
	s_delay_alu instid0(VALU_DEP_1)
	v_mul_u64_e32 v[2:3], s[10:11], v[0:1]
	s_clause 0x1
	s_load_b32 s10, s[0:1], 0x0
	s_load_b64 s[6:7], s[0:1], 0x30
	s_wait_xcnt 0x0
	s_add_nc_u64 s[0:1], s[12:13], s[14:15]
	s_wait_kmcnt 0x0
	v_cmp_gt_u32_e32 vcc_lo, s10, v0
	s_delay_alu instid0(VALU_DEP_2)
	v_lshl_add_u64 v[0:1], v[2:3], 4, s[0:1]
	s_and_b32 s0, vcc_lo, s9
	s_branch .LBB35_3
.LBB35_2:                               ;   in Loop: Header=BB35_3 Depth=1
	s_wait_xcnt 0x0
	s_or_b32 exec_lo, exec_lo, s1
	s_add_co_i32 s2, s2, 0x10000
	s_delay_alu instid0(SALU_CYCLE_1)
	s_cmp_lt_u32 s2, s8
	s_cbranch_scc0 .LBB35_5
.LBB35_3:                               ; =>This Inner Loop Header: Depth=1
	s_and_saveexec_b32 s1, s0
	s_cbranch_execz .LBB35_2
; %bb.4:                                ;   in Loop: Header=BB35_3 Depth=1
	s_mul_u64 s[10:11], s[6:7], s[2:3]
	s_delay_alu instid0(SALU_CYCLE_1) | instskip(SKIP_4) | instid1(VALU_DEP_2)
	v_lshl_add_u64 v[8:9], s[10:11], 4, v[0:1]
	global_load_b128 v[2:5], v[8:9], off
	s_wait_loadcnt 0x0
	v_mul_f64_e32 v[10:11], 0, v[4:5]
	v_mul_f64_e32 v[6:7], s[4:5], v[4:5]
	v_fma_f64 v[4:5], s[4:5], v[2:3], -v[10:11]
	s_delay_alu instid0(VALU_DEP_2)
	v_fmac_f64_e32 v[6:7], 0, v[2:3]
	global_store_b128 v[8:9], v[4:7], off
	s_branch .LBB35_2
.LBB35_5:
	s_endpgm
	.section	.rodata,"a",@progbits
	.p2align	6, 0x0
	.amdhsa_kernel _ZL19rocblas_scal_kernelIiLi256E19rocblas_complex_numIdES1_dPS1_EviT3_lT4_lT_li
		.amdhsa_group_segment_fixed_size 0
		.amdhsa_private_segment_fixed_size 0
		.amdhsa_kernarg_size 60
		.amdhsa_user_sgpr_count 2
		.amdhsa_user_sgpr_dispatch_ptr 0
		.amdhsa_user_sgpr_queue_ptr 0
		.amdhsa_user_sgpr_kernarg_segment_ptr 1
		.amdhsa_user_sgpr_dispatch_id 0
		.amdhsa_user_sgpr_kernarg_preload_length 0
		.amdhsa_user_sgpr_kernarg_preload_offset 0
		.amdhsa_user_sgpr_private_segment_size 0
		.amdhsa_wavefront_size32 1
		.amdhsa_uses_dynamic_stack 0
		.amdhsa_enable_private_segment 0
		.amdhsa_system_sgpr_workgroup_id_x 1
		.amdhsa_system_sgpr_workgroup_id_y 0
		.amdhsa_system_sgpr_workgroup_id_z 1
		.amdhsa_system_sgpr_workgroup_info 0
		.amdhsa_system_vgpr_workitem_id 0
		.amdhsa_next_free_vgpr 12
		.amdhsa_next_free_sgpr 16
		.amdhsa_named_barrier_count 0
		.amdhsa_reserve_vcc 1
		.amdhsa_float_round_mode_32 0
		.amdhsa_float_round_mode_16_64 0
		.amdhsa_float_denorm_mode_32 3
		.amdhsa_float_denorm_mode_16_64 3
		.amdhsa_fp16_overflow 0
		.amdhsa_memory_ordered 1
		.amdhsa_forward_progress 1
		.amdhsa_inst_pref_size 3
		.amdhsa_round_robin_scheduling 0
		.amdhsa_exception_fp_ieee_invalid_op 0
		.amdhsa_exception_fp_denorm_src 0
		.amdhsa_exception_fp_ieee_div_zero 0
		.amdhsa_exception_fp_ieee_overflow 0
		.amdhsa_exception_fp_ieee_underflow 0
		.amdhsa_exception_fp_ieee_inexact 0
		.amdhsa_exception_int_div_zero 0
	.end_amdhsa_kernel
	.section	.text._ZL19rocblas_scal_kernelIiLi256E19rocblas_complex_numIdES1_dPS1_EviT3_lT4_lT_li,"axG",@progbits,_ZL19rocblas_scal_kernelIiLi256E19rocblas_complex_numIdES1_dPS1_EviT3_lT4_lT_li,comdat
.Lfunc_end35:
	.size	_ZL19rocblas_scal_kernelIiLi256E19rocblas_complex_numIdES1_dPS1_EviT3_lT4_lT_li, .Lfunc_end35-_ZL19rocblas_scal_kernelIiLi256E19rocblas_complex_numIdES1_dPS1_EviT3_lT4_lT_li
                                        ; -- End function
	.set _ZL19rocblas_scal_kernelIiLi256E19rocblas_complex_numIdES1_dPS1_EviT3_lT4_lT_li.num_vgpr, 12
	.set _ZL19rocblas_scal_kernelIiLi256E19rocblas_complex_numIdES1_dPS1_EviT3_lT4_lT_li.num_agpr, 0
	.set _ZL19rocblas_scal_kernelIiLi256E19rocblas_complex_numIdES1_dPS1_EviT3_lT4_lT_li.numbered_sgpr, 16
	.set _ZL19rocblas_scal_kernelIiLi256E19rocblas_complex_numIdES1_dPS1_EviT3_lT4_lT_li.num_named_barrier, 0
	.set _ZL19rocblas_scal_kernelIiLi256E19rocblas_complex_numIdES1_dPS1_EviT3_lT4_lT_li.private_seg_size, 0
	.set _ZL19rocblas_scal_kernelIiLi256E19rocblas_complex_numIdES1_dPS1_EviT3_lT4_lT_li.uses_vcc, 1
	.set _ZL19rocblas_scal_kernelIiLi256E19rocblas_complex_numIdES1_dPS1_EviT3_lT4_lT_li.uses_flat_scratch, 0
	.set _ZL19rocblas_scal_kernelIiLi256E19rocblas_complex_numIdES1_dPS1_EviT3_lT4_lT_li.has_dyn_sized_stack, 0
	.set _ZL19rocblas_scal_kernelIiLi256E19rocblas_complex_numIdES1_dPS1_EviT3_lT4_lT_li.has_recursion, 0
	.set _ZL19rocblas_scal_kernelIiLi256E19rocblas_complex_numIdES1_dPS1_EviT3_lT4_lT_li.has_indirect_call, 0
	.section	.AMDGPU.csdata,"",@progbits
; Kernel info:
; codeLenInByte = 340
; TotalNumSgprs: 18
; NumVgprs: 12
; ScratchSize: 0
; MemoryBound: 0
; FloatMode: 240
; IeeeMode: 1
; LDSByteSize: 0 bytes/workgroup (compile time only)
; SGPRBlocks: 0
; VGPRBlocks: 0
; NumSGPRsForWavesPerEU: 18
; NumVGPRsForWavesPerEU: 12
; NamedBarCnt: 0
; Occupancy: 16
; WaveLimiterHint : 0
; COMPUTE_PGM_RSRC2:SCRATCH_EN: 0
; COMPUTE_PGM_RSRC2:USER_SGPR: 2
; COMPUTE_PGM_RSRC2:TRAP_HANDLER: 0
; COMPUTE_PGM_RSRC2:TGID_X_EN: 1
; COMPUTE_PGM_RSRC2:TGID_Y_EN: 0
; COMPUTE_PGM_RSRC2:TGID_Z_EN: 1
; COMPUTE_PGM_RSRC2:TIDIG_COMP_CNT: 0
	.section	.text._ZL19rocblas_scal_kernelIlLi256E19rocblas_complex_numIdES1_PKdPS1_EviT3_lT4_lT_li,"axG",@progbits,_ZL19rocblas_scal_kernelIlLi256E19rocblas_complex_numIdES1_PKdPS1_EviT3_lT4_lT_li,comdat
	.globl	_ZL19rocblas_scal_kernelIlLi256E19rocblas_complex_numIdES1_PKdPS1_EviT3_lT4_lT_li ; -- Begin function _ZL19rocblas_scal_kernelIlLi256E19rocblas_complex_numIdES1_PKdPS1_EviT3_lT4_lT_li
	.p2align	8
	.type	_ZL19rocblas_scal_kernelIlLi256E19rocblas_complex_numIdES1_PKdPS1_EviT3_lT4_lT_li,@function
_ZL19rocblas_scal_kernelIlLi256E19rocblas_complex_numIdES1_PKdPS1_EviT3_lT4_lT_li: ; @_ZL19rocblas_scal_kernelIlLi256E19rocblas_complex_numIdES1_PKdPS1_EviT3_lT4_lT_li
; %bb.0:
	s_load_b32 s16, s[0:1], 0x38
	s_bfe_u32 s2, ttmp6, 0x40014
	s_lshr_b32 s3, ttmp7, 16
	s_add_co_i32 s2, s2, 1
	s_bfe_u32 s4, ttmp6, 0x40008
	s_mul_i32 s2, s3, s2
	s_getreg_b32 s17, hwreg(HW_REG_IB_STS2, 6, 4)
	s_add_co_i32 s4, s4, s2
	s_cmp_eq_u32 s17, 0
	s_cselect_b32 s2, s3, s4
	s_mov_b32 s3, 0
	s_wait_kmcnt 0x0
	s_cmp_ge_u32 s2, s16
	s_cbranch_scc1 .LBB36_5
; %bb.1:
	s_clause 0x1
	s_load_b256 s[4:11], s[0:1], 0x8
	s_load_b128 s[12:15], s[0:1], 0x28
	s_bfe_u32 s18, ttmp6, 0x4000c
	s_and_b32 s19, ttmp6, 15
	s_add_co_i32 s18, s18, 1
	v_mov_b32_e32 v1, 0
	s_mul_i32 s18, ttmp9, s18
	s_delay_alu instid0(SALU_CYCLE_1) | instskip(SKIP_4) | instid1(SALU_CYCLE_1)
	s_add_co_i32 s19, s19, s18
	s_wait_kmcnt 0x0
	s_lshl_b64 s[10:11], s[10:11], 4
	s_cmp_eq_u32 s17, 0
	s_cselect_b32 s17, ttmp9, s19
	v_lshl_or_b32 v0, s17, 8, v0
	s_delay_alu instid0(VALU_DEP_1)
	v_mul_u64_e32 v[2:3], s[12:13], v[0:1]
	s_load_b32 s12, s[0:1], 0x0
	s_wait_xcnt 0x0
	s_add_nc_u64 s[0:1], s[8:9], s[10:11]
	s_wait_kmcnt 0x0
	v_cmp_gt_u32_e32 vcc_lo, s12, v0
	s_delay_alu instid0(VALU_DEP_2)
	v_lshl_add_u64 v[2:3], v[2:3], 4, s[0:1]
	s_branch .LBB36_3
.LBB36_2:                               ;   in Loop: Header=BB36_3 Depth=1
	s_wait_xcnt 0x0
	s_or_b32 exec_lo, exec_lo, s0
	s_add_co_i32 s2, s2, 0x10000
	s_delay_alu instid0(SALU_CYCLE_1)
	s_cmp_lt_u32 s2, s16
	s_cbranch_scc0 .LBB36_5
.LBB36_3:                               ; =>This Inner Loop Header: Depth=1
	s_mul_u64 s[0:1], s[6:7], s[2:3]
	s_delay_alu instid0(SALU_CYCLE_1) | instskip(NEXT) | instid1(SALU_CYCLE_1)
	s_lshl_b64 s[0:1], s[0:1], 3
	s_add_nc_u64 s[0:1], s[4:5], s[0:1]
	global_load_b64 v[4:5], v1, s[0:1]
	s_wait_loadcnt 0x0
	s_wait_xcnt 0x0
	v_cmp_neq_f64_e64 s0, 1.0, v[4:5]
	s_and_b32 s1, vcc_lo, s0
	s_delay_alu instid0(SALU_CYCLE_1)
	s_and_saveexec_b32 s0, s1
	s_cbranch_execz .LBB36_2
; %bb.4:                                ;   in Loop: Header=BB36_3 Depth=1
	s_mul_u64 s[8:9], s[14:15], s[2:3]
	s_delay_alu instid0(SALU_CYCLE_1) | instskip(SKIP_4) | instid1(VALU_DEP_2)
	v_lshl_add_u64 v[12:13], s[8:9], 4, v[2:3]
	global_load_b128 v[6:9], v[12:13], off
	s_wait_loadcnt 0x0
	v_mul_f64_e32 v[14:15], 0, v[8:9]
	v_mul_f64_e32 v[10:11], v[4:5], v[8:9]
	v_fma_f64 v[8:9], v[4:5], v[6:7], -v[14:15]
	s_delay_alu instid0(VALU_DEP_2)
	v_fmac_f64_e32 v[10:11], 0, v[6:7]
	global_store_b128 v[12:13], v[8:11], off
	s_branch .LBB36_2
.LBB36_5:
	s_endpgm
	.section	.rodata,"a",@progbits
	.p2align	6, 0x0
	.amdhsa_kernel _ZL19rocblas_scal_kernelIlLi256E19rocblas_complex_numIdES1_PKdPS1_EviT3_lT4_lT_li
		.amdhsa_group_segment_fixed_size 0
		.amdhsa_private_segment_fixed_size 0
		.amdhsa_kernarg_size 60
		.amdhsa_user_sgpr_count 2
		.amdhsa_user_sgpr_dispatch_ptr 0
		.amdhsa_user_sgpr_queue_ptr 0
		.amdhsa_user_sgpr_kernarg_segment_ptr 1
		.amdhsa_user_sgpr_dispatch_id 0
		.amdhsa_user_sgpr_kernarg_preload_length 0
		.amdhsa_user_sgpr_kernarg_preload_offset 0
		.amdhsa_user_sgpr_private_segment_size 0
		.amdhsa_wavefront_size32 1
		.amdhsa_uses_dynamic_stack 0
		.amdhsa_enable_private_segment 0
		.amdhsa_system_sgpr_workgroup_id_x 1
		.amdhsa_system_sgpr_workgroup_id_y 0
		.amdhsa_system_sgpr_workgroup_id_z 1
		.amdhsa_system_sgpr_workgroup_info 0
		.amdhsa_system_vgpr_workitem_id 0
		.amdhsa_next_free_vgpr 16
		.amdhsa_next_free_sgpr 20
		.amdhsa_named_barrier_count 0
		.amdhsa_reserve_vcc 1
		.amdhsa_float_round_mode_32 0
		.amdhsa_float_round_mode_16_64 0
		.amdhsa_float_denorm_mode_32 3
		.amdhsa_float_denorm_mode_16_64 3
		.amdhsa_fp16_overflow 0
		.amdhsa_memory_ordered 1
		.amdhsa_forward_progress 1
		.amdhsa_inst_pref_size 3
		.amdhsa_round_robin_scheduling 0
		.amdhsa_exception_fp_ieee_invalid_op 0
		.amdhsa_exception_fp_denorm_src 0
		.amdhsa_exception_fp_ieee_div_zero 0
		.amdhsa_exception_fp_ieee_overflow 0
		.amdhsa_exception_fp_ieee_underflow 0
		.amdhsa_exception_fp_ieee_inexact 0
		.amdhsa_exception_int_div_zero 0
	.end_amdhsa_kernel
	.section	.text._ZL19rocblas_scal_kernelIlLi256E19rocblas_complex_numIdES1_PKdPS1_EviT3_lT4_lT_li,"axG",@progbits,_ZL19rocblas_scal_kernelIlLi256E19rocblas_complex_numIdES1_PKdPS1_EviT3_lT4_lT_li,comdat
.Lfunc_end36:
	.size	_ZL19rocblas_scal_kernelIlLi256E19rocblas_complex_numIdES1_PKdPS1_EviT3_lT4_lT_li, .Lfunc_end36-_ZL19rocblas_scal_kernelIlLi256E19rocblas_complex_numIdES1_PKdPS1_EviT3_lT4_lT_li
                                        ; -- End function
	.set _ZL19rocblas_scal_kernelIlLi256E19rocblas_complex_numIdES1_PKdPS1_EviT3_lT4_lT_li.num_vgpr, 16
	.set _ZL19rocblas_scal_kernelIlLi256E19rocblas_complex_numIdES1_PKdPS1_EviT3_lT4_lT_li.num_agpr, 0
	.set _ZL19rocblas_scal_kernelIlLi256E19rocblas_complex_numIdES1_PKdPS1_EviT3_lT4_lT_li.numbered_sgpr, 20
	.set _ZL19rocblas_scal_kernelIlLi256E19rocblas_complex_numIdES1_PKdPS1_EviT3_lT4_lT_li.num_named_barrier, 0
	.set _ZL19rocblas_scal_kernelIlLi256E19rocblas_complex_numIdES1_PKdPS1_EviT3_lT4_lT_li.private_seg_size, 0
	.set _ZL19rocblas_scal_kernelIlLi256E19rocblas_complex_numIdES1_PKdPS1_EviT3_lT4_lT_li.uses_vcc, 1
	.set _ZL19rocblas_scal_kernelIlLi256E19rocblas_complex_numIdES1_PKdPS1_EviT3_lT4_lT_li.uses_flat_scratch, 0
	.set _ZL19rocblas_scal_kernelIlLi256E19rocblas_complex_numIdES1_PKdPS1_EviT3_lT4_lT_li.has_dyn_sized_stack, 0
	.set _ZL19rocblas_scal_kernelIlLi256E19rocblas_complex_numIdES1_PKdPS1_EviT3_lT4_lT_li.has_recursion, 0
	.set _ZL19rocblas_scal_kernelIlLi256E19rocblas_complex_numIdES1_PKdPS1_EviT3_lT4_lT_li.has_indirect_call, 0
	.section	.AMDGPU.csdata,"",@progbits
; Kernel info:
; codeLenInByte = 356
; TotalNumSgprs: 22
; NumVgprs: 16
; ScratchSize: 0
; MemoryBound: 0
; FloatMode: 240
; IeeeMode: 1
; LDSByteSize: 0 bytes/workgroup (compile time only)
; SGPRBlocks: 0
; VGPRBlocks: 0
; NumSGPRsForWavesPerEU: 22
; NumVGPRsForWavesPerEU: 16
; NamedBarCnt: 0
; Occupancy: 16
; WaveLimiterHint : 0
; COMPUTE_PGM_RSRC2:SCRATCH_EN: 0
; COMPUTE_PGM_RSRC2:USER_SGPR: 2
; COMPUTE_PGM_RSRC2:TRAP_HANDLER: 0
; COMPUTE_PGM_RSRC2:TGID_X_EN: 1
; COMPUTE_PGM_RSRC2:TGID_Y_EN: 0
; COMPUTE_PGM_RSRC2:TGID_Z_EN: 1
; COMPUTE_PGM_RSRC2:TIDIG_COMP_CNT: 0
	.section	.text._ZL19rocblas_scal_kernelIlLi256E19rocblas_complex_numIdES1_dPS1_EviT3_lT4_lT_li,"axG",@progbits,_ZL19rocblas_scal_kernelIlLi256E19rocblas_complex_numIdES1_dPS1_EviT3_lT4_lT_li,comdat
	.globl	_ZL19rocblas_scal_kernelIlLi256E19rocblas_complex_numIdES1_dPS1_EviT3_lT4_lT_li ; -- Begin function _ZL19rocblas_scal_kernelIlLi256E19rocblas_complex_numIdES1_dPS1_EviT3_lT4_lT_li
	.p2align	8
	.type	_ZL19rocblas_scal_kernelIlLi256E19rocblas_complex_numIdES1_dPS1_EviT3_lT4_lT_li,@function
_ZL19rocblas_scal_kernelIlLi256E19rocblas_complex_numIdES1_dPS1_EviT3_lT4_lT_li: ; @_ZL19rocblas_scal_kernelIlLi256E19rocblas_complex_numIdES1_dPS1_EviT3_lT4_lT_li
; %bb.0:
	s_load_b32 s14, s[0:1], 0x38
	s_bfe_u32 s2, ttmp6, 0x40014
	s_lshr_b32 s3, ttmp7, 16
	s_add_co_i32 s2, s2, 1
	s_bfe_u32 s4, ttmp6, 0x40008
	s_mul_i32 s2, s3, s2
	s_getreg_b32 s15, hwreg(HW_REG_IB_STS2, 6, 4)
	s_add_co_i32 s4, s4, s2
	s_cmp_eq_u32 s15, 0
	s_cselect_b32 s2, s3, s4
	s_mov_b32 s3, 0
	s_wait_kmcnt 0x0
	s_cmp_ge_u32 s2, s14
	s_cbranch_scc1 .LBB37_5
; %bb.1:
	s_clause 0x1
	s_load_b256 s[4:11], s[0:1], 0x18
	s_load_b64 s[12:13], s[0:1], 0x8
	s_bfe_u32 s16, ttmp6, 0x4000c
	s_and_b32 s17, ttmp6, 15
	s_add_co_i32 s16, s16, 1
	v_mov_b32_e32 v1, 0
	s_mul_i32 s16, ttmp9, s16
	s_delay_alu instid0(SALU_CYCLE_1) | instskip(SKIP_4) | instid1(SALU_CYCLE_1)
	s_add_co_i32 s17, s17, s16
	s_wait_kmcnt 0x0
	s_lshl_b64 s[6:7], s[6:7], 4
	s_cmp_eq_u32 s15, 0
	s_cselect_b32 s15, ttmp9, s17
	v_lshl_or_b32 v0, s15, 8, v0
	s_delay_alu instid0(VALU_DEP_1)
	v_mul_u64_e32 v[2:3], s[8:9], v[0:1]
	s_load_b32 s9, s[0:1], 0x0
	v_cmp_neq_f64_e64 s8, s[12:13], 1.0
	s_wait_xcnt 0x0
	s_add_nc_u64 s[0:1], s[4:5], s[6:7]
	s_wait_kmcnt 0x0
	v_cmp_gt_u32_e32 vcc_lo, s9, v0
	v_lshl_add_u64 v[0:1], v[2:3], 4, s[0:1]
	s_and_b32 s0, vcc_lo, s8
	s_branch .LBB37_3
.LBB37_2:                               ;   in Loop: Header=BB37_3 Depth=1
	s_wait_xcnt 0x0
	s_or_b32 exec_lo, exec_lo, s1
	s_add_co_i32 s2, s2, 0x10000
	s_delay_alu instid0(SALU_CYCLE_1)
	s_cmp_lt_u32 s2, s14
	s_cbranch_scc0 .LBB37_5
.LBB37_3:                               ; =>This Inner Loop Header: Depth=1
	s_and_saveexec_b32 s1, s0
	s_cbranch_execz .LBB37_2
; %bb.4:                                ;   in Loop: Header=BB37_3 Depth=1
	s_mul_u64 s[4:5], s[10:11], s[2:3]
	s_delay_alu instid0(SALU_CYCLE_1) | instskip(SKIP_4) | instid1(VALU_DEP_2)
	v_lshl_add_u64 v[8:9], s[4:5], 4, v[0:1]
	global_load_b128 v[2:5], v[8:9], off
	s_wait_loadcnt 0x0
	v_mul_f64_e32 v[10:11], 0, v[4:5]
	v_mul_f64_e32 v[6:7], s[12:13], v[4:5]
	v_fma_f64 v[4:5], s[12:13], v[2:3], -v[10:11]
	s_delay_alu instid0(VALU_DEP_2)
	v_fmac_f64_e32 v[6:7], 0, v[2:3]
	global_store_b128 v[8:9], v[4:7], off
	s_branch .LBB37_2
.LBB37_5:
	s_endpgm
	.section	.rodata,"a",@progbits
	.p2align	6, 0x0
	.amdhsa_kernel _ZL19rocblas_scal_kernelIlLi256E19rocblas_complex_numIdES1_dPS1_EviT3_lT4_lT_li
		.amdhsa_group_segment_fixed_size 0
		.amdhsa_private_segment_fixed_size 0
		.amdhsa_kernarg_size 60
		.amdhsa_user_sgpr_count 2
		.amdhsa_user_sgpr_dispatch_ptr 0
		.amdhsa_user_sgpr_queue_ptr 0
		.amdhsa_user_sgpr_kernarg_segment_ptr 1
		.amdhsa_user_sgpr_dispatch_id 0
		.amdhsa_user_sgpr_kernarg_preload_length 0
		.amdhsa_user_sgpr_kernarg_preload_offset 0
		.amdhsa_user_sgpr_private_segment_size 0
		.amdhsa_wavefront_size32 1
		.amdhsa_uses_dynamic_stack 0
		.amdhsa_enable_private_segment 0
		.amdhsa_system_sgpr_workgroup_id_x 1
		.amdhsa_system_sgpr_workgroup_id_y 0
		.amdhsa_system_sgpr_workgroup_id_z 1
		.amdhsa_system_sgpr_workgroup_info 0
		.amdhsa_system_vgpr_workitem_id 0
		.amdhsa_next_free_vgpr 12
		.amdhsa_next_free_sgpr 18
		.amdhsa_named_barrier_count 0
		.amdhsa_reserve_vcc 1
		.amdhsa_float_round_mode_32 0
		.amdhsa_float_round_mode_16_64 0
		.amdhsa_float_denorm_mode_32 3
		.amdhsa_float_denorm_mode_16_64 3
		.amdhsa_fp16_overflow 0
		.amdhsa_memory_ordered 1
		.amdhsa_forward_progress 1
		.amdhsa_inst_pref_size 3
		.amdhsa_round_robin_scheduling 0
		.amdhsa_exception_fp_ieee_invalid_op 0
		.amdhsa_exception_fp_denorm_src 0
		.amdhsa_exception_fp_ieee_div_zero 0
		.amdhsa_exception_fp_ieee_overflow 0
		.amdhsa_exception_fp_ieee_underflow 0
		.amdhsa_exception_fp_ieee_inexact 0
		.amdhsa_exception_int_div_zero 0
	.end_amdhsa_kernel
	.section	.text._ZL19rocblas_scal_kernelIlLi256E19rocblas_complex_numIdES1_dPS1_EviT3_lT4_lT_li,"axG",@progbits,_ZL19rocblas_scal_kernelIlLi256E19rocblas_complex_numIdES1_dPS1_EviT3_lT4_lT_li,comdat
.Lfunc_end37:
	.size	_ZL19rocblas_scal_kernelIlLi256E19rocblas_complex_numIdES1_dPS1_EviT3_lT4_lT_li, .Lfunc_end37-_ZL19rocblas_scal_kernelIlLi256E19rocblas_complex_numIdES1_dPS1_EviT3_lT4_lT_li
                                        ; -- End function
	.set _ZL19rocblas_scal_kernelIlLi256E19rocblas_complex_numIdES1_dPS1_EviT3_lT4_lT_li.num_vgpr, 12
	.set _ZL19rocblas_scal_kernelIlLi256E19rocblas_complex_numIdES1_dPS1_EviT3_lT4_lT_li.num_agpr, 0
	.set _ZL19rocblas_scal_kernelIlLi256E19rocblas_complex_numIdES1_dPS1_EviT3_lT4_lT_li.numbered_sgpr, 18
	.set _ZL19rocblas_scal_kernelIlLi256E19rocblas_complex_numIdES1_dPS1_EviT3_lT4_lT_li.num_named_barrier, 0
	.set _ZL19rocblas_scal_kernelIlLi256E19rocblas_complex_numIdES1_dPS1_EviT3_lT4_lT_li.private_seg_size, 0
	.set _ZL19rocblas_scal_kernelIlLi256E19rocblas_complex_numIdES1_dPS1_EviT3_lT4_lT_li.uses_vcc, 1
	.set _ZL19rocblas_scal_kernelIlLi256E19rocblas_complex_numIdES1_dPS1_EviT3_lT4_lT_li.uses_flat_scratch, 0
	.set _ZL19rocblas_scal_kernelIlLi256E19rocblas_complex_numIdES1_dPS1_EviT3_lT4_lT_li.has_dyn_sized_stack, 0
	.set _ZL19rocblas_scal_kernelIlLi256E19rocblas_complex_numIdES1_dPS1_EviT3_lT4_lT_li.has_recursion, 0
	.set _ZL19rocblas_scal_kernelIlLi256E19rocblas_complex_numIdES1_dPS1_EviT3_lT4_lT_li.has_indirect_call, 0
	.section	.AMDGPU.csdata,"",@progbits
; Kernel info:
; codeLenInByte = 312
; TotalNumSgprs: 20
; NumVgprs: 12
; ScratchSize: 0
; MemoryBound: 0
; FloatMode: 240
; IeeeMode: 1
; LDSByteSize: 0 bytes/workgroup (compile time only)
; SGPRBlocks: 0
; VGPRBlocks: 0
; NumSGPRsForWavesPerEU: 20
; NumVGPRsForWavesPerEU: 12
; NamedBarCnt: 0
; Occupancy: 16
; WaveLimiterHint : 0
; COMPUTE_PGM_RSRC2:SCRATCH_EN: 0
; COMPUTE_PGM_RSRC2:USER_SGPR: 2
; COMPUTE_PGM_RSRC2:TRAP_HANDLER: 0
; COMPUTE_PGM_RSRC2:TGID_X_EN: 1
; COMPUTE_PGM_RSRC2:TGID_Y_EN: 0
; COMPUTE_PGM_RSRC2:TGID_Z_EN: 1
; COMPUTE_PGM_RSRC2:TIDIG_COMP_CNT: 0
	.section	.text._ZL22rocblas_sscal_2_kernelILi256EDF16_DF16_PKDF16_PKPDF16_EviT2_lT3_lli,"axG",@progbits,_ZL22rocblas_sscal_2_kernelILi256EDF16_DF16_PKDF16_PKPDF16_EviT2_lT3_lli,comdat
	.globl	_ZL22rocblas_sscal_2_kernelILi256EDF16_DF16_PKDF16_PKPDF16_EviT2_lT3_lli ; -- Begin function _ZL22rocblas_sscal_2_kernelILi256EDF16_DF16_PKDF16_PKPDF16_EviT2_lT3_lli
	.p2align	8
	.type	_ZL22rocblas_sscal_2_kernelILi256EDF16_DF16_PKDF16_PKPDF16_EviT2_lT3_lli,@function
_ZL22rocblas_sscal_2_kernelILi256EDF16_DF16_PKDF16_PKPDF16_EviT2_lT3_lli: ; @_ZL22rocblas_sscal_2_kernelILi256EDF16_DF16_PKDF16_PKPDF16_EviT2_lT3_lli
; %bb.0:
	s_load_b32 s12, s[0:1], 0x30
	s_bfe_u32 s2, ttmp6, 0x40014
	s_lshr_b32 s3, ttmp7, 16
	s_add_co_i32 s2, s2, 1
	s_bfe_u32 s4, ttmp6, 0x40008
	s_mul_i32 s2, s3, s2
	s_getreg_b32 s13, hwreg(HW_REG_IB_STS2, 6, 4)
	s_add_co_i32 s4, s4, s2
	s_cmp_eq_u32 s13, 0
	s_cselect_b32 s2, s3, s4
	s_mov_b32 s3, 0
	s_wait_kmcnt 0x0
	s_cmp_ge_u32 s2, s12
	s_cbranch_scc1 .LBB38_9
; %bb.1:
	s_load_b32 s14, s[0:1], 0x0
	s_bfe_u32 s15, ttmp6, 0x4000c
	s_load_b256 s[4:11], s[0:1], 0x8
	s_add_co_i32 s15, s15, 1
	s_wait_xcnt 0x0
	s_and_b32 s0, ttmp6, 15
	s_mul_i32 s1, ttmp9, s15
	v_dual_mov_b32 v1, 0 :: v_dual_lshlrev_b32 v0, 1, v0
	s_add_co_i32 s0, s0, s1
	s_cmp_eq_u32 s13, 0
	s_cselect_b32 s0, ttmp9, s0
	s_delay_alu instid0(VALU_DEP_1) | instid1(SALU_CYCLE_1)
	v_lshl_or_b32 v0, s0, 9, v0
	s_delay_alu instid0(VALU_DEP_1)
	v_or_b32_e32 v2, 1, v0
	s_wait_kmcnt 0x0
	s_bitcmp1_b32 s14, 0
	s_cselect_b32 s1, -1, 0
	s_add_co_i32 s0, s14, -1
	s_lshl_b64 s[10:11], s[10:11], 1
	v_cmp_eq_u32_e32 vcc_lo, s0, v0
	v_cmp_gt_u32_e64 s0, s14, v2
	s_and_b32 s1, s1, vcc_lo
	s_branch .LBB38_4
.LBB38_2:                               ;   in Loop: Header=BB38_4 Depth=1
	s_wait_xcnt 0x0
	s_or_b32 exec_lo, exec_lo, s13
.LBB38_3:                               ;   in Loop: Header=BB38_4 Depth=1
	s_add_co_i32 s2, s2, 0x10000
	s_delay_alu instid0(SALU_CYCLE_1)
	s_cmp_lt_u32 s2, s12
	s_cbranch_scc0 .LBB38_9
.LBB38_4:                               ; =>This Inner Loop Header: Depth=1
	s_wait_xcnt 0x0
	s_mul_u64 s[14:15], s[6:7], s[2:3]
	s_delay_alu instid0(SALU_CYCLE_1) | instskip(NEXT) | instid1(SALU_CYCLE_1)
	s_lshl_b64 s[14:15], s[14:15], 1
	s_add_nc_u64 s[14:15], s[4:5], s[14:15]
	global_load_u16 v4, v1, s[14:15]
	s_wait_loadcnt 0x0
	v_cmp_eq_f16_e32 vcc_lo, 1.0, v4
	s_cbranch_vccnz .LBB38_3
; %bb.5:                                ;   in Loop: Header=BB38_4 Depth=1
	s_wait_xcnt 0x0
	s_lshl_b64 s[14:15], s[2:3], 3
	s_delay_alu instid0(SALU_CYCLE_1) | instskip(SKIP_4) | instid1(SALU_CYCLE_1)
	s_add_nc_u64 s[14:15], s[8:9], s[14:15]
	s_load_b64 s[14:15], s[14:15], 0x0
	s_wait_kmcnt 0x0
	s_wait_xcnt 0x0
	s_add_nc_u64 s[14:15], s[14:15], s[10:11]
	v_lshl_add_u64 v[2:3], v[0:1], 1, s[14:15]
	s_and_saveexec_b32 s13, s0
	s_cbranch_execz .LBB38_7
; %bb.6:                                ;   in Loop: Header=BB38_4 Depth=1
	flat_load_b32 v5, v[2:3]
	s_wait_loadcnt_dscnt 0x0
	v_pk_mul_f16 v5, v4, v5 op_sel_hi:[0,1]
	flat_store_b32 v[2:3], v5
.LBB38_7:                               ;   in Loop: Header=BB38_4 Depth=1
	s_wait_xcnt 0x0
	s_or_b32 exec_lo, exec_lo, s13
	s_and_saveexec_b32 s13, s1
	s_cbranch_execz .LBB38_2
; %bb.8:                                ;   in Loop: Header=BB38_4 Depth=1
	flat_load_u16 v5, v[2:3]
	s_wait_loadcnt_dscnt 0x0
	v_mul_f16_e32 v4, v4, v5
	flat_store_b16 v[2:3], v4
	s_branch .LBB38_2
.LBB38_9:
	s_endpgm
	.section	.rodata,"a",@progbits
	.p2align	6, 0x0
	.amdhsa_kernel _ZL22rocblas_sscal_2_kernelILi256EDF16_DF16_PKDF16_PKPDF16_EviT2_lT3_lli
		.amdhsa_group_segment_fixed_size 0
		.amdhsa_private_segment_fixed_size 0
		.amdhsa_kernarg_size 52
		.amdhsa_user_sgpr_count 2
		.amdhsa_user_sgpr_dispatch_ptr 0
		.amdhsa_user_sgpr_queue_ptr 0
		.amdhsa_user_sgpr_kernarg_segment_ptr 1
		.amdhsa_user_sgpr_dispatch_id 0
		.amdhsa_user_sgpr_kernarg_preload_length 0
		.amdhsa_user_sgpr_kernarg_preload_offset 0
		.amdhsa_user_sgpr_private_segment_size 0
		.amdhsa_wavefront_size32 1
		.amdhsa_uses_dynamic_stack 0
		.amdhsa_enable_private_segment 0
		.amdhsa_system_sgpr_workgroup_id_x 1
		.amdhsa_system_sgpr_workgroup_id_y 0
		.amdhsa_system_sgpr_workgroup_id_z 1
		.amdhsa_system_sgpr_workgroup_info 0
		.amdhsa_system_vgpr_workitem_id 0
		.amdhsa_next_free_vgpr 6
		.amdhsa_next_free_sgpr 16
		.amdhsa_named_barrier_count 0
		.amdhsa_reserve_vcc 1
		.amdhsa_float_round_mode_32 0
		.amdhsa_float_round_mode_16_64 0
		.amdhsa_float_denorm_mode_32 3
		.amdhsa_float_denorm_mode_16_64 3
		.amdhsa_fp16_overflow 0
		.amdhsa_memory_ordered 1
		.amdhsa_forward_progress 1
		.amdhsa_inst_pref_size 4
		.amdhsa_round_robin_scheduling 0
		.amdhsa_exception_fp_ieee_invalid_op 0
		.amdhsa_exception_fp_denorm_src 0
		.amdhsa_exception_fp_ieee_div_zero 0
		.amdhsa_exception_fp_ieee_overflow 0
		.amdhsa_exception_fp_ieee_underflow 0
		.amdhsa_exception_fp_ieee_inexact 0
		.amdhsa_exception_int_div_zero 0
	.end_amdhsa_kernel
	.section	.text._ZL22rocblas_sscal_2_kernelILi256EDF16_DF16_PKDF16_PKPDF16_EviT2_lT3_lli,"axG",@progbits,_ZL22rocblas_sscal_2_kernelILi256EDF16_DF16_PKDF16_PKPDF16_EviT2_lT3_lli,comdat
.Lfunc_end38:
	.size	_ZL22rocblas_sscal_2_kernelILi256EDF16_DF16_PKDF16_PKPDF16_EviT2_lT3_lli, .Lfunc_end38-_ZL22rocblas_sscal_2_kernelILi256EDF16_DF16_PKDF16_PKPDF16_EviT2_lT3_lli
                                        ; -- End function
	.set _ZL22rocblas_sscal_2_kernelILi256EDF16_DF16_PKDF16_PKPDF16_EviT2_lT3_lli.num_vgpr, 6
	.set _ZL22rocblas_sscal_2_kernelILi256EDF16_DF16_PKDF16_PKPDF16_EviT2_lT3_lli.num_agpr, 0
	.set _ZL22rocblas_sscal_2_kernelILi256EDF16_DF16_PKDF16_PKPDF16_EviT2_lT3_lli.numbered_sgpr, 16
	.set _ZL22rocblas_sscal_2_kernelILi256EDF16_DF16_PKDF16_PKPDF16_EviT2_lT3_lli.num_named_barrier, 0
	.set _ZL22rocblas_sscal_2_kernelILi256EDF16_DF16_PKDF16_PKPDF16_EviT2_lT3_lli.private_seg_size, 0
	.set _ZL22rocblas_sscal_2_kernelILi256EDF16_DF16_PKDF16_PKPDF16_EviT2_lT3_lli.uses_vcc, 1
	.set _ZL22rocblas_sscal_2_kernelILi256EDF16_DF16_PKDF16_PKPDF16_EviT2_lT3_lli.uses_flat_scratch, 0
	.set _ZL22rocblas_sscal_2_kernelILi256EDF16_DF16_PKDF16_PKPDF16_EviT2_lT3_lli.has_dyn_sized_stack, 0
	.set _ZL22rocblas_sscal_2_kernelILi256EDF16_DF16_PKDF16_PKPDF16_EviT2_lT3_lli.has_recursion, 0
	.set _ZL22rocblas_sscal_2_kernelILi256EDF16_DF16_PKDF16_PKPDF16_EviT2_lT3_lli.has_indirect_call, 0
	.section	.AMDGPU.csdata,"",@progbits
; Kernel info:
; codeLenInByte = 404
; TotalNumSgprs: 18
; NumVgprs: 6
; ScratchSize: 0
; MemoryBound: 0
; FloatMode: 240
; IeeeMode: 1
; LDSByteSize: 0 bytes/workgroup (compile time only)
; SGPRBlocks: 0
; VGPRBlocks: 0
; NumSGPRsForWavesPerEU: 18
; NumVGPRsForWavesPerEU: 6
; NamedBarCnt: 0
; Occupancy: 16
; WaveLimiterHint : 1
; COMPUTE_PGM_RSRC2:SCRATCH_EN: 0
; COMPUTE_PGM_RSRC2:USER_SGPR: 2
; COMPUTE_PGM_RSRC2:TRAP_HANDLER: 0
; COMPUTE_PGM_RSRC2:TGID_X_EN: 1
; COMPUTE_PGM_RSRC2:TGID_Y_EN: 0
; COMPUTE_PGM_RSRC2:TGID_Z_EN: 1
; COMPUTE_PGM_RSRC2:TIDIG_COMP_CNT: 0
	.section	.text._ZL22rocblas_sscal_2_kernelILi256EDF16_DF16_DF16_PKPDF16_EviT2_lT3_lli,"axG",@progbits,_ZL22rocblas_sscal_2_kernelILi256EDF16_DF16_DF16_PKPDF16_EviT2_lT3_lli,comdat
	.globl	_ZL22rocblas_sscal_2_kernelILi256EDF16_DF16_DF16_PKPDF16_EviT2_lT3_lli ; -- Begin function _ZL22rocblas_sscal_2_kernelILi256EDF16_DF16_DF16_PKPDF16_EviT2_lT3_lli
	.p2align	8
	.type	_ZL22rocblas_sscal_2_kernelILi256EDF16_DF16_DF16_PKPDF16_EviT2_lT3_lli,@function
_ZL22rocblas_sscal_2_kernelILi256EDF16_DF16_DF16_PKPDF16_EviT2_lT3_lli: ; @_ZL22rocblas_sscal_2_kernelILi256EDF16_DF16_DF16_PKPDF16_EviT2_lT3_lli
; %bb.0:
	s_load_b32 s8, s[0:1], 0x28
	s_bfe_u32 s2, ttmp6, 0x40014
	s_lshr_b32 s3, ttmp7, 16
	s_add_co_i32 s2, s2, 1
	s_bfe_u32 s4, ttmp6, 0x40008
	s_mul_i32 s2, s3, s2
	s_getreg_b32 s10, hwreg(HW_REG_IB_STS2, 6, 4)
	s_add_co_i32 s4, s4, s2
	s_cmp_eq_u32 s10, 0
	s_cselect_b32 s9, s3, s4
	s_wait_kmcnt 0x0
	s_cmp_ge_u32 s9, s8
	s_cbranch_scc1 .LBB39_9
; %bb.1:
	s_clause 0x1
	s_load_b64 s[2:3], s[0:1], 0x0
	s_load_b128 s[4:7], s[0:1], 0x10
	s_bfe_u32 s11, ttmp6, 0x4000c
	s_wait_xcnt 0x0
	s_and_b32 s0, ttmp6, 15
	s_add_co_i32 s11, s11, 1
	v_dual_mov_b32 v1, 0 :: v_dual_lshlrev_b32 v0, 1, v0
	s_mul_i32 s1, ttmp9, s11
	s_delay_alu instid0(SALU_CYCLE_1) | instskip(SKIP_2) | instid1(SALU_CYCLE_1)
	s_add_co_i32 s0, s0, s1
	s_cmp_eq_u32 s10, 0
	s_cselect_b32 s0, ttmp9, s0
	v_lshl_or_b32 v0, s0, 9, v0
	s_delay_alu instid0(VALU_DEP_1)
	v_or_b32_e32 v2, 1, v0
	s_wait_kmcnt 0x0
	s_cmp_neq_f16 s3, 0x3c00
	s_cselect_b32 s1, -1, 0
	s_bitcmp1_b32 s2, 0
	s_cselect_b32 s10, -1, 0
	s_add_co_i32 s0, s2, -1
	s_lshl_b64 s[6:7], s[6:7], 1
	v_cmp_eq_u32_e32 vcc_lo, s0, v0
	v_cmp_gt_u32_e64 s0, s2, v2
	s_pack_ll_b32_b16 s2, s3, s3
	s_and_b32 s10, s10, vcc_lo
	s_branch .LBB39_4
.LBB39_2:                               ;   in Loop: Header=BB39_4 Depth=1
	s_wait_xcnt 0x0
	s_or_b32 exec_lo, exec_lo, s11
.LBB39_3:                               ;   in Loop: Header=BB39_4 Depth=1
	s_add_co_i32 s9, s9, 0x10000
	s_delay_alu instid0(SALU_CYCLE_1)
	s_cmp_lt_u32 s9, s8
	s_cbranch_scc0 .LBB39_9
.LBB39_4:                               ; =>This Inner Loop Header: Depth=1
	s_and_not1_b32 vcc_lo, exec_lo, s1
	s_cbranch_vccnz .LBB39_3
; %bb.5:                                ;   in Loop: Header=BB39_4 Depth=1
	s_load_b64 s[12:13], s[4:5], s9 offset:0x0 scale_offset
	s_wait_kmcnt 0x0
	s_add_nc_u64 s[12:13], s[12:13], s[6:7]
	s_delay_alu instid0(SALU_CYCLE_1)
	v_lshl_add_u64 v[2:3], v[0:1], 1, s[12:13]
	s_and_saveexec_b32 s11, s0
	s_cbranch_execz .LBB39_7
; %bb.6:                                ;   in Loop: Header=BB39_4 Depth=1
	flat_load_b32 v4, v[2:3]
	s_wait_loadcnt_dscnt 0x0
	v_pk_mul_f16 v4, s2, v4
	flat_store_b32 v[2:3], v4
.LBB39_7:                               ;   in Loop: Header=BB39_4 Depth=1
	s_wait_xcnt 0x0
	s_or_b32 exec_lo, exec_lo, s11
	s_and_saveexec_b32 s11, s10
	s_cbranch_execz .LBB39_2
; %bb.8:                                ;   in Loop: Header=BB39_4 Depth=1
	flat_load_u16 v4, v[2:3]
	s_wait_loadcnt_dscnt 0x0
	v_mul_f16_e32 v4, s3, v4
	flat_store_b16 v[2:3], v4
	s_branch .LBB39_2
.LBB39_9:
	s_endpgm
	.section	.rodata,"a",@progbits
	.p2align	6, 0x0
	.amdhsa_kernel _ZL22rocblas_sscal_2_kernelILi256EDF16_DF16_DF16_PKPDF16_EviT2_lT3_lli
		.amdhsa_group_segment_fixed_size 0
		.amdhsa_private_segment_fixed_size 0
		.amdhsa_kernarg_size 44
		.amdhsa_user_sgpr_count 2
		.amdhsa_user_sgpr_dispatch_ptr 0
		.amdhsa_user_sgpr_queue_ptr 0
		.amdhsa_user_sgpr_kernarg_segment_ptr 1
		.amdhsa_user_sgpr_dispatch_id 0
		.amdhsa_user_sgpr_kernarg_preload_length 0
		.amdhsa_user_sgpr_kernarg_preload_offset 0
		.amdhsa_user_sgpr_private_segment_size 0
		.amdhsa_wavefront_size32 1
		.amdhsa_uses_dynamic_stack 0
		.amdhsa_enable_private_segment 0
		.amdhsa_system_sgpr_workgroup_id_x 1
		.amdhsa_system_sgpr_workgroup_id_y 0
		.amdhsa_system_sgpr_workgroup_id_z 1
		.amdhsa_system_sgpr_workgroup_info 0
		.amdhsa_system_vgpr_workitem_id 0
		.amdhsa_next_free_vgpr 5
		.amdhsa_next_free_sgpr 14
		.amdhsa_named_barrier_count 0
		.amdhsa_reserve_vcc 1
		.amdhsa_float_round_mode_32 0
		.amdhsa_float_round_mode_16_64 0
		.amdhsa_float_denorm_mode_32 3
		.amdhsa_float_denorm_mode_16_64 3
		.amdhsa_fp16_overflow 0
		.amdhsa_memory_ordered 1
		.amdhsa_forward_progress 1
		.amdhsa_inst_pref_size 3
		.amdhsa_round_robin_scheduling 0
		.amdhsa_exception_fp_ieee_invalid_op 0
		.amdhsa_exception_fp_denorm_src 0
		.amdhsa_exception_fp_ieee_div_zero 0
		.amdhsa_exception_fp_ieee_overflow 0
		.amdhsa_exception_fp_ieee_underflow 0
		.amdhsa_exception_fp_ieee_inexact 0
		.amdhsa_exception_int_div_zero 0
	.end_amdhsa_kernel
	.section	.text._ZL22rocblas_sscal_2_kernelILi256EDF16_DF16_DF16_PKPDF16_EviT2_lT3_lli,"axG",@progbits,_ZL22rocblas_sscal_2_kernelILi256EDF16_DF16_DF16_PKPDF16_EviT2_lT3_lli,comdat
.Lfunc_end39:
	.size	_ZL22rocblas_sscal_2_kernelILi256EDF16_DF16_DF16_PKPDF16_EviT2_lT3_lli, .Lfunc_end39-_ZL22rocblas_sscal_2_kernelILi256EDF16_DF16_DF16_PKPDF16_EviT2_lT3_lli
                                        ; -- End function
	.set _ZL22rocblas_sscal_2_kernelILi256EDF16_DF16_DF16_PKPDF16_EviT2_lT3_lli.num_vgpr, 5
	.set _ZL22rocblas_sscal_2_kernelILi256EDF16_DF16_DF16_PKPDF16_EviT2_lT3_lli.num_agpr, 0
	.set _ZL22rocblas_sscal_2_kernelILi256EDF16_DF16_DF16_PKPDF16_EviT2_lT3_lli.numbered_sgpr, 14
	.set _ZL22rocblas_sscal_2_kernelILi256EDF16_DF16_DF16_PKPDF16_EviT2_lT3_lli.num_named_barrier, 0
	.set _ZL22rocblas_sscal_2_kernelILi256EDF16_DF16_DF16_PKPDF16_EviT2_lT3_lli.private_seg_size, 0
	.set _ZL22rocblas_sscal_2_kernelILi256EDF16_DF16_DF16_PKPDF16_EviT2_lT3_lli.uses_vcc, 1
	.set _ZL22rocblas_sscal_2_kernelILi256EDF16_DF16_DF16_PKPDF16_EviT2_lT3_lli.uses_flat_scratch, 0
	.set _ZL22rocblas_sscal_2_kernelILi256EDF16_DF16_DF16_PKPDF16_EviT2_lT3_lli.has_dyn_sized_stack, 0
	.set _ZL22rocblas_sscal_2_kernelILi256EDF16_DF16_DF16_PKPDF16_EviT2_lT3_lli.has_recursion, 0
	.set _ZL22rocblas_sscal_2_kernelILi256EDF16_DF16_DF16_PKPDF16_EviT2_lT3_lli.has_indirect_call, 0
	.section	.AMDGPU.csdata,"",@progbits
; Kernel info:
; codeLenInByte = 368
; TotalNumSgprs: 16
; NumVgprs: 5
; ScratchSize: 0
; MemoryBound: 0
; FloatMode: 240
; IeeeMode: 1
; LDSByteSize: 0 bytes/workgroup (compile time only)
; SGPRBlocks: 0
; VGPRBlocks: 0
; NumSGPRsForWavesPerEU: 16
; NumVGPRsForWavesPerEU: 5
; NamedBarCnt: 0
; Occupancy: 16
; WaveLimiterHint : 1
; COMPUTE_PGM_RSRC2:SCRATCH_EN: 0
; COMPUTE_PGM_RSRC2:USER_SGPR: 2
; COMPUTE_PGM_RSRC2:TRAP_HANDLER: 0
; COMPUTE_PGM_RSRC2:TGID_X_EN: 1
; COMPUTE_PGM_RSRC2:TGID_Y_EN: 0
; COMPUTE_PGM_RSRC2:TGID_Z_EN: 1
; COMPUTE_PGM_RSRC2:TIDIG_COMP_CNT: 0
	.section	.text._ZL26rocblas_hscal_mlt_4_kernelILi256EPKDF16_PKPDF16_EviiiT0_lT1_lli,"axG",@progbits,_ZL26rocblas_hscal_mlt_4_kernelILi256EPKDF16_PKPDF16_EviiiT0_lT1_lli,comdat
	.globl	_ZL26rocblas_hscal_mlt_4_kernelILi256EPKDF16_PKPDF16_EviiiT0_lT1_lli ; -- Begin function _ZL26rocblas_hscal_mlt_4_kernelILi256EPKDF16_PKPDF16_EviiiT0_lT1_lli
	.p2align	8
	.type	_ZL26rocblas_hscal_mlt_4_kernelILi256EPKDF16_PKPDF16_EviiiT0_lT1_lli,@function
_ZL26rocblas_hscal_mlt_4_kernelILi256EPKDF16_PKPDF16_EviiiT0_lT1_lli: ; @_ZL26rocblas_hscal_mlt_4_kernelILi256EPKDF16_PKPDF16_EviiiT0_lT1_lli
; %bb.0:
	s_load_b32 s15, s[0:1], 0x38
	s_bfe_u32 s2, ttmp6, 0x40014
	s_lshr_b32 s4, ttmp7, 16
	s_add_co_i32 s2, s2, 1
	s_bfe_u32 s5, ttmp6, 0x40008
	s_mul_i32 s2, s4, s2
	s_getreg_b32 s3, hwreg(HW_REG_IB_STS2, 6, 4)
	s_add_co_i32 s5, s5, s2
	s_cmp_eq_u32 s3, 0
	s_mov_b32 s17, 0
	s_cselect_b32 s2, s4, s5
	s_wait_kmcnt 0x0
	s_cmp_ge_u32 s2, s15
	s_cbranch_scc1 .LBB40_16
; %bb.1:
	s_load_b96 s[12:14], s[0:1], 0x0
	s_bfe_u32 s4, ttmp6, 0x4000c
	s_and_b32 s5, ttmp6, 15
	s_add_co_i32 s4, s4, 1
	v_dual_mov_b32 v1, 0 :: v_dual_lshlrev_b32 v0, 2, v0
	s_mul_i32 s4, ttmp9, s4
	s_delay_alu instid0(SALU_CYCLE_1) | instskip(SKIP_4) | instid1(VALU_DEP_1)
	s_add_co_i32 s5, s5, s4
	s_cmp_eq_u32 s3, 0
	s_cselect_b32 s3, ttmp9, s5
	s_load_b256 s[4:11], s[0:1], 0x10
	v_lshl_or_b32 v0, s3, 10, v0
	v_or_b32_e32 v2, 3, v0
	s_wait_kmcnt 0x0
	v_cmp_eq_u32_e32 vcc_lo, s14, v0
	v_sub_co_u32 v3, s1, 0, s13
	s_delay_alu instid0(VALU_DEP_3)
	v_cmp_gt_u32_e64 s0, s12, v2
	s_and_b32 s1, s1, vcc_lo
	s_cmp_gt_i32 s13, 0
	v_cmp_le_u32_e32 vcc_lo, s14, v3
	s_cselect_b32 s12, -1, 0
	s_cmp_gt_u32 s13, 3
	s_cselect_b32 s3, -1, 0
	s_and_b32 s20, s13, 0x7ffffffc
	s_and_b32 s21, s3, vcc_lo
	s_cmp_lg_u32 s13, s20
	s_cselect_b32 s22, -1, 0
	s_lshl_b64 s[10:11], s[10:11], 1
	s_branch .LBB40_4
.LBB40_2:                               ;   in Loop: Header=BB40_4 Depth=1
	s_wait_xcnt 0x0
	s_or_b32 exec_lo, exec_lo, s23
.LBB40_3:                               ;   in Loop: Header=BB40_4 Depth=1
	s_add_co_i32 s2, s2, 0x10000
	s_delay_alu instid0(SALU_CYCLE_1)
	s_cmp_lt_u32 s2, s15
	s_cbranch_scc0 .LBB40_16
.LBB40_4:                               ; =>This Loop Header: Depth=1
                                        ;     Child Loop BB40_11 Depth 2
                                        ;     Child Loop BB40_15 Depth 2
	s_mov_b32 s3, s17
	s_wait_xcnt 0x0
	s_mul_u64 s[18:19], s[6:7], s[2:3]
	s_delay_alu instid0(SALU_CYCLE_1) | instskip(NEXT) | instid1(SALU_CYCLE_1)
	s_lshl_b64 s[18:19], s[18:19], 1
	s_add_nc_u64 s[18:19], s[4:5], s[18:19]
	global_load_u16 v2, v1, s[18:19]
	s_wait_loadcnt 0x0
	v_cmp_eq_f16_e32 vcc_lo, 1.0, v2
	s_cbranch_vccnz .LBB40_3
; %bb.5:                                ;   in Loop: Header=BB40_4 Depth=1
	s_wait_xcnt 0x0
	s_and_saveexec_b32 s16, s0
	s_cbranch_execz .LBB40_7
; %bb.6:                                ;   in Loop: Header=BB40_4 Depth=1
	s_lshl_b64 s[18:19], s[2:3], 3
	s_delay_alu instid0(SALU_CYCLE_1) | instskip(SKIP_4) | instid1(SALU_CYCLE_1)
	s_add_nc_u64 s[18:19], s[8:9], s[18:19]
	s_load_b64 s[18:19], s[18:19], 0x0
	s_wait_kmcnt 0x0
	s_wait_xcnt 0x0
	s_add_nc_u64 s[18:19], s[18:19], s[10:11]
	v_lshl_add_u64 v[4:5], v[0:1], 1, s[18:19]
	flat_load_b64 v[6:7], v[4:5]
	s_wait_loadcnt_dscnt 0x0
	v_pk_mul_f16 v7, v2, v7 op_sel_hi:[0,1]
	v_pk_mul_f16 v6, v2, v6 op_sel_hi:[0,1]
	flat_store_b64 v[4:5], v[6:7]
.LBB40_7:                               ;   in Loop: Header=BB40_4 Depth=1
	s_wait_xcnt 0x0
	s_or_b32 exec_lo, exec_lo, s16
	s_and_saveexec_b32 s23, s1
	s_cbranch_execz .LBB40_2
; %bb.8:                                ;   in Loop: Header=BB40_4 Depth=1
	s_and_not1_b32 vcc_lo, exec_lo, s12
	s_cbranch_vccnz .LBB40_2
; %bb.9:                                ;   in Loop: Header=BB40_4 Depth=1
	s_lshl_b64 s[18:19], s[2:3], 3
	s_and_not1_b32 vcc_lo, exec_lo, s21
	s_add_nc_u64 s[18:19], s[8:9], s[18:19]
	s_load_b64 s[18:19], s[18:19], 0x0
	s_wait_kmcnt 0x0
	s_add_nc_u64 s[18:19], s[18:19], s[10:11]
	s_cbranch_vccnz .LBB40_13
; %bb.10:                               ;   in Loop: Header=BB40_4 Depth=1
	v_and_b32_e32 v3, 0xffff, v2
	s_mov_b32 s16, s14
	s_mov_b32 s3, s20
	s_delay_alu instid0(VALU_DEP_1)
	v_lshl_or_b32 v3, v2, 16, v3
.LBB40_11:                              ;   Parent Loop BB40_4 Depth=1
                                        ; =>  This Inner Loop Header: Depth=2
	s_lshl_b64 s[24:25], s[16:17], 1
	s_add_co_i32 s3, s3, -4
	s_wait_xcnt 0x0
	s_add_nc_u64 s[26:27], s[18:19], s[24:25]
	s_add_co_i32 s16, s16, 4
	flat_load_b64 v[4:5], v1, s[26:27]
	s_mov_b32 s24, s20
	s_cmp_lg_u32 s3, 0
	s_mov_b32 s25, s22
	s_wait_loadcnt_dscnt 0x0
	v_pk_mul_f16 v5, v3, v5
	v_pk_mul_f16 v4, v3, v4
	flat_store_b64 v1, v[4:5], s[26:27]
	s_cbranch_scc1 .LBB40_11
; %bb.12:                               ;   in Loop: Header=BB40_4 Depth=1
	s_and_b32 vcc_lo, exec_lo, s25
	s_cbranch_vccz .LBB40_2
	s_branch .LBB40_14
.LBB40_13:                              ;   in Loop: Header=BB40_4 Depth=1
	s_mov_b32 s24, 0
	s_cbranch_execz .LBB40_2
.LBB40_14:                              ;   in Loop: Header=BB40_4 Depth=1
	s_sub_co_i32 s3, s13, s24
	s_add_co_i32 s16, s14, s24
.LBB40_15:                              ;   Parent Loop BB40_4 Depth=1
                                        ; =>  This Inner Loop Header: Depth=2
	s_wait_xcnt 0x0
	v_mov_b32_e32 v3, s16
	s_add_co_i32 s3, s3, -1
	s_add_co_i32 s16, s16, 1
	s_cmp_lg_u32 s3, 0
	flat_load_u16 v4, v3, s[18:19] scale_offset
	s_wait_loadcnt_dscnt 0x0
	v_mul_f16_e32 v4, v2, v4
	flat_store_b16 v3, v4, s[18:19] scale_offset
	s_cbranch_scc1 .LBB40_15
	s_branch .LBB40_2
.LBB40_16:
	s_endpgm
	.section	.rodata,"a",@progbits
	.p2align	6, 0x0
	.amdhsa_kernel _ZL26rocblas_hscal_mlt_4_kernelILi256EPKDF16_PKPDF16_EviiiT0_lT1_lli
		.amdhsa_group_segment_fixed_size 0
		.amdhsa_private_segment_fixed_size 0
		.amdhsa_kernarg_size 60
		.amdhsa_user_sgpr_count 2
		.amdhsa_user_sgpr_dispatch_ptr 0
		.amdhsa_user_sgpr_queue_ptr 0
		.amdhsa_user_sgpr_kernarg_segment_ptr 1
		.amdhsa_user_sgpr_dispatch_id 0
		.amdhsa_user_sgpr_kernarg_preload_length 0
		.amdhsa_user_sgpr_kernarg_preload_offset 0
		.amdhsa_user_sgpr_private_segment_size 0
		.amdhsa_wavefront_size32 1
		.amdhsa_uses_dynamic_stack 0
		.amdhsa_enable_private_segment 0
		.amdhsa_system_sgpr_workgroup_id_x 1
		.amdhsa_system_sgpr_workgroup_id_y 0
		.amdhsa_system_sgpr_workgroup_id_z 1
		.amdhsa_system_sgpr_workgroup_info 0
		.amdhsa_system_vgpr_workitem_id 0
		.amdhsa_next_free_vgpr 8
		.amdhsa_next_free_sgpr 28
		.amdhsa_named_barrier_count 0
		.amdhsa_reserve_vcc 1
		.amdhsa_float_round_mode_32 0
		.amdhsa_float_round_mode_16_64 0
		.amdhsa_float_denorm_mode_32 3
		.amdhsa_float_denorm_mode_16_64 3
		.amdhsa_fp16_overflow 0
		.amdhsa_memory_ordered 1
		.amdhsa_forward_progress 1
		.amdhsa_inst_pref_size 6
		.amdhsa_round_robin_scheduling 0
		.amdhsa_exception_fp_ieee_invalid_op 0
		.amdhsa_exception_fp_denorm_src 0
		.amdhsa_exception_fp_ieee_div_zero 0
		.amdhsa_exception_fp_ieee_overflow 0
		.amdhsa_exception_fp_ieee_underflow 0
		.amdhsa_exception_fp_ieee_inexact 0
		.amdhsa_exception_int_div_zero 0
	.end_amdhsa_kernel
	.section	.text._ZL26rocblas_hscal_mlt_4_kernelILi256EPKDF16_PKPDF16_EviiiT0_lT1_lli,"axG",@progbits,_ZL26rocblas_hscal_mlt_4_kernelILi256EPKDF16_PKPDF16_EviiiT0_lT1_lli,comdat
.Lfunc_end40:
	.size	_ZL26rocblas_hscal_mlt_4_kernelILi256EPKDF16_PKPDF16_EviiiT0_lT1_lli, .Lfunc_end40-_ZL26rocblas_hscal_mlt_4_kernelILi256EPKDF16_PKPDF16_EviiiT0_lT1_lli
                                        ; -- End function
	.set _ZL26rocblas_hscal_mlt_4_kernelILi256EPKDF16_PKPDF16_EviiiT0_lT1_lli.num_vgpr, 8
	.set _ZL26rocblas_hscal_mlt_4_kernelILi256EPKDF16_PKPDF16_EviiiT0_lT1_lli.num_agpr, 0
	.set _ZL26rocblas_hscal_mlt_4_kernelILi256EPKDF16_PKPDF16_EviiiT0_lT1_lli.numbered_sgpr, 28
	.set _ZL26rocblas_hscal_mlt_4_kernelILi256EPKDF16_PKPDF16_EviiiT0_lT1_lli.num_named_barrier, 0
	.set _ZL26rocblas_hscal_mlt_4_kernelILi256EPKDF16_PKPDF16_EviiiT0_lT1_lli.private_seg_size, 0
	.set _ZL26rocblas_hscal_mlt_4_kernelILi256EPKDF16_PKPDF16_EviiiT0_lT1_lli.uses_vcc, 1
	.set _ZL26rocblas_hscal_mlt_4_kernelILi256EPKDF16_PKPDF16_EviiiT0_lT1_lli.uses_flat_scratch, 0
	.set _ZL26rocblas_hscal_mlt_4_kernelILi256EPKDF16_PKPDF16_EviiiT0_lT1_lli.has_dyn_sized_stack, 0
	.set _ZL26rocblas_hscal_mlt_4_kernelILi256EPKDF16_PKPDF16_EviiiT0_lT1_lli.has_recursion, 0
	.set _ZL26rocblas_hscal_mlt_4_kernelILi256EPKDF16_PKPDF16_EviiiT0_lT1_lli.has_indirect_call, 0
	.section	.AMDGPU.csdata,"",@progbits
; Kernel info:
; codeLenInByte = 648
; TotalNumSgprs: 30
; NumVgprs: 8
; ScratchSize: 0
; MemoryBound: 0
; FloatMode: 240
; IeeeMode: 1
; LDSByteSize: 0 bytes/workgroup (compile time only)
; SGPRBlocks: 0
; VGPRBlocks: 0
; NumSGPRsForWavesPerEU: 30
; NumVGPRsForWavesPerEU: 8
; NamedBarCnt: 0
; Occupancy: 16
; WaveLimiterHint : 1
; COMPUTE_PGM_RSRC2:SCRATCH_EN: 0
; COMPUTE_PGM_RSRC2:USER_SGPR: 2
; COMPUTE_PGM_RSRC2:TRAP_HANDLER: 0
; COMPUTE_PGM_RSRC2:TGID_X_EN: 1
; COMPUTE_PGM_RSRC2:TGID_Y_EN: 0
; COMPUTE_PGM_RSRC2:TGID_Z_EN: 1
; COMPUTE_PGM_RSRC2:TIDIG_COMP_CNT: 0
	.section	.text._ZL26rocblas_hscal_mlt_4_kernelILi256EDF16_PKPDF16_EviiiT0_lT1_lli,"axG",@progbits,_ZL26rocblas_hscal_mlt_4_kernelILi256EDF16_PKPDF16_EviiiT0_lT1_lli,comdat
	.globl	_ZL26rocblas_hscal_mlt_4_kernelILi256EDF16_PKPDF16_EviiiT0_lT1_lli ; -- Begin function _ZL26rocblas_hscal_mlt_4_kernelILi256EDF16_PKPDF16_EviiiT0_lT1_lli
	.p2align	8
	.type	_ZL26rocblas_hscal_mlt_4_kernelILi256EDF16_PKPDF16_EviiiT0_lT1_lli,@function
_ZL26rocblas_hscal_mlt_4_kernelILi256EDF16_PKPDF16_EviiiT0_lT1_lli: ; @_ZL26rocblas_hscal_mlt_4_kernelILi256EDF16_PKPDF16_EviiiT0_lT1_lli
; %bb.0:
	s_load_b32 s14, s[0:1], 0x30
	s_bfe_u32 s2, ttmp6, 0x40014
	s_lshr_b32 s3, ttmp7, 16
	s_add_co_i32 s2, s2, 1
	s_bfe_u32 s5, ttmp6, 0x40008
	s_mul_i32 s4, s3, s2
	s_getreg_b32 s2, hwreg(HW_REG_IB_STS2, 6, 4)
	s_add_co_i32 s5, s5, s4
	s_cmp_eq_u32 s2, 0
	s_cselect_b32 s15, s3, s5
	s_mov_b32 s3, 0
	s_wait_kmcnt 0x0
	s_cmp_ge_u32 s15, s14
	s_cbranch_scc1 .LBB41_15
; %bb.1:
	s_load_b128 s[4:7], s[0:1], 0x0
	s_bfe_u32 s8, ttmp6, 0x4000c
	s_and_b32 s9, ttmp6, 15
	s_add_co_i32 s8, s8, 1
	v_dual_mov_b32 v1, 0 :: v_dual_lshlrev_b32 v0, 2, v0
	s_mul_i32 s8, ttmp9, s8
	s_delay_alu instid0(SALU_CYCLE_1) | instskip(SKIP_4) | instid1(VALU_DEP_1)
	s_add_co_i32 s9, s9, s8
	s_cmp_eq_u32 s2, 0
	s_cselect_b32 s2, ttmp9, s9
	s_load_b128 s[8:11], s[0:1], 0x18
	v_lshl_or_b32 v0, s2, 10, v0
	v_or_b32_e32 v2, 3, v0
	s_wait_kmcnt 0x0
	v_cmp_eq_u32_e32 vcc_lo, s6, v0
	s_cmp_neq_f16 s7, 0x3c00
	v_sub_co_u32 v3, s2, 0, s5
	v_cmp_gt_u32_e64 s0, s4, v2
	s_cselect_b32 s4, -1, 0
	s_and_b32 s16, s2, vcc_lo
	s_cmp_gt_i32 s5, 0
	v_cmp_le_u32_e32 vcc_lo, s6, v3
	s_cselect_b32 s17, -1, 0
	s_cmp_gt_u32 s5, 3
	s_pack_ll_b32_b16 s1, s7, s7
	s_cselect_b32 s2, -1, 0
	s_and_b32 s18, s5, 0x7ffffffc
	s_and_b32 s19, s2, vcc_lo
	s_cmp_lg_u32 s5, s18
	s_mov_b32 s20, s1
	s_cselect_b32 s21, -1, 0
	s_lshl_b64 s[10:11], s[10:11], 1
	s_branch .LBB41_4
.LBB41_2:                               ;   in Loop: Header=BB41_4 Depth=1
	s_wait_xcnt 0x0
	s_or_b32 exec_lo, exec_lo, s22
.LBB41_3:                               ;   in Loop: Header=BB41_4 Depth=1
	s_add_co_i32 s15, s15, 0x10000
	s_delay_alu instid0(SALU_CYCLE_1)
	s_cmp_lt_u32 s15, s14
	s_cbranch_scc0 .LBB41_15
.LBB41_4:                               ; =>This Loop Header: Depth=1
                                        ;     Child Loop BB41_10 Depth 2
                                        ;     Child Loop BB41_14 Depth 2
	s_and_not1_b32 vcc_lo, exec_lo, s4
	s_cbranch_vccnz .LBB41_3
; %bb.5:                                ;   in Loop: Header=BB41_4 Depth=1
	s_and_saveexec_b32 s2, s0
	s_cbranch_execz .LBB41_7
; %bb.6:                                ;   in Loop: Header=BB41_4 Depth=1
	s_load_b64 s[12:13], s[8:9], s15 offset:0x0 scale_offset
	s_wait_kmcnt 0x0
	s_add_nc_u64 s[12:13], s[12:13], s[10:11]
	s_delay_alu instid0(SALU_CYCLE_1)
	v_lshl_add_u64 v[2:3], v[0:1], 1, s[12:13]
	flat_load_b64 v[4:5], v[2:3]
	s_wait_loadcnt_dscnt 0x0
	v_pk_mul_f16 v5, s20, v5
	v_pk_mul_f16 v4, s1, v4
	flat_store_b64 v[2:3], v[4:5]
.LBB41_7:                               ;   in Loop: Header=BB41_4 Depth=1
	s_wait_xcnt 0x0
	s_or_b32 exec_lo, exec_lo, s2
	s_and_saveexec_b32 s22, s16
	s_cbranch_execz .LBB41_2
; %bb.8:                                ;   in Loop: Header=BB41_4 Depth=1
	s_and_not1_b32 vcc_lo, exec_lo, s17
	s_cbranch_vccnz .LBB41_2
; %bb.9:                                ;   in Loop: Header=BB41_4 Depth=1
	s_load_b64 s[12:13], s[8:9], s15 offset:0x0 scale_offset
	s_mov_b32 s2, s6
	s_and_not1_b32 vcc_lo, exec_lo, s19
	s_mov_b32 s23, s18
	s_wait_kmcnt 0x0
	s_add_nc_u64 s[12:13], s[12:13], s[10:11]
	s_cbranch_vccnz .LBB41_12
.LBB41_10:                              ;   Parent Loop BB41_4 Depth=1
                                        ; =>  This Inner Loop Header: Depth=2
	s_lshl_b64 s[24:25], s[2:3], 1
	s_add_co_i32 s23, s23, -4
	s_wait_xcnt 0x0
	s_add_nc_u64 s[26:27], s[12:13], s[24:25]
	s_add_co_i32 s2, s2, 4
	flat_load_b64 v[2:3], v1, s[26:27]
	s_mov_b32 s24, s18
	s_cmp_lg_u32 s23, 0
	s_mov_b32 s25, s21
	s_wait_loadcnt_dscnt 0x0
	v_pk_mul_f16 v3, s20, v3
	v_pk_mul_f16 v2, s1, v2
	flat_store_b64 v1, v[2:3], s[26:27]
	s_cbranch_scc1 .LBB41_10
; %bb.11:                               ;   in Loop: Header=BB41_4 Depth=1
	s_and_b32 vcc_lo, exec_lo, s25
	s_cbranch_vccz .LBB41_2
	s_branch .LBB41_13
.LBB41_12:                              ;   in Loop: Header=BB41_4 Depth=1
	s_mov_b32 s24, 0
	s_cbranch_execz .LBB41_2
.LBB41_13:                              ;   in Loop: Header=BB41_4 Depth=1
	s_sub_co_i32 s2, s5, s24
	s_add_co_i32 s23, s6, s24
.LBB41_14:                              ;   Parent Loop BB41_4 Depth=1
                                        ; =>  This Inner Loop Header: Depth=2
	s_wait_xcnt 0x0
	v_mov_b32_e32 v2, s23
	s_add_co_i32 s2, s2, -1
	s_add_co_i32 s23, s23, 1
	s_cmp_lg_u32 s2, 0
	flat_load_u16 v3, v2, s[12:13] scale_offset
	s_wait_loadcnt_dscnt 0x0
	v_mul_f16_e32 v3, s7, v3
	flat_store_b16 v2, v3, s[12:13] scale_offset
	s_cbranch_scc1 .LBB41_14
	s_branch .LBB41_2
.LBB41_15:
	s_endpgm
	.section	.rodata,"a",@progbits
	.p2align	6, 0x0
	.amdhsa_kernel _ZL26rocblas_hscal_mlt_4_kernelILi256EDF16_PKPDF16_EviiiT0_lT1_lli
		.amdhsa_group_segment_fixed_size 0
		.amdhsa_private_segment_fixed_size 0
		.amdhsa_kernarg_size 52
		.amdhsa_user_sgpr_count 2
		.amdhsa_user_sgpr_dispatch_ptr 0
		.amdhsa_user_sgpr_queue_ptr 0
		.amdhsa_user_sgpr_kernarg_segment_ptr 1
		.amdhsa_user_sgpr_dispatch_id 0
		.amdhsa_user_sgpr_kernarg_preload_length 0
		.amdhsa_user_sgpr_kernarg_preload_offset 0
		.amdhsa_user_sgpr_private_segment_size 0
		.amdhsa_wavefront_size32 1
		.amdhsa_uses_dynamic_stack 0
		.amdhsa_enable_private_segment 0
		.amdhsa_system_sgpr_workgroup_id_x 1
		.amdhsa_system_sgpr_workgroup_id_y 0
		.amdhsa_system_sgpr_workgroup_id_z 1
		.amdhsa_system_sgpr_workgroup_info 0
		.amdhsa_system_vgpr_workitem_id 0
		.amdhsa_next_free_vgpr 6
		.amdhsa_next_free_sgpr 28
		.amdhsa_named_barrier_count 0
		.amdhsa_reserve_vcc 1
		.amdhsa_float_round_mode_32 0
		.amdhsa_float_round_mode_16_64 0
		.amdhsa_float_denorm_mode_32 3
		.amdhsa_float_denorm_mode_16_64 3
		.amdhsa_fp16_overflow 0
		.amdhsa_memory_ordered 1
		.amdhsa_forward_progress 1
		.amdhsa_inst_pref_size 5
		.amdhsa_round_robin_scheduling 0
		.amdhsa_exception_fp_ieee_invalid_op 0
		.amdhsa_exception_fp_denorm_src 0
		.amdhsa_exception_fp_ieee_div_zero 0
		.amdhsa_exception_fp_ieee_overflow 0
		.amdhsa_exception_fp_ieee_underflow 0
		.amdhsa_exception_fp_ieee_inexact 0
		.amdhsa_exception_int_div_zero 0
	.end_amdhsa_kernel
	.section	.text._ZL26rocblas_hscal_mlt_4_kernelILi256EDF16_PKPDF16_EviiiT0_lT1_lli,"axG",@progbits,_ZL26rocblas_hscal_mlt_4_kernelILi256EDF16_PKPDF16_EviiiT0_lT1_lli,comdat
.Lfunc_end41:
	.size	_ZL26rocblas_hscal_mlt_4_kernelILi256EDF16_PKPDF16_EviiiT0_lT1_lli, .Lfunc_end41-_ZL26rocblas_hscal_mlt_4_kernelILi256EDF16_PKPDF16_EviiiT0_lT1_lli
                                        ; -- End function
	.set _ZL26rocblas_hscal_mlt_4_kernelILi256EDF16_PKPDF16_EviiiT0_lT1_lli.num_vgpr, 6
	.set _ZL26rocblas_hscal_mlt_4_kernelILi256EDF16_PKPDF16_EviiiT0_lT1_lli.num_agpr, 0
	.set _ZL26rocblas_hscal_mlt_4_kernelILi256EDF16_PKPDF16_EviiiT0_lT1_lli.numbered_sgpr, 28
	.set _ZL26rocblas_hscal_mlt_4_kernelILi256EDF16_PKPDF16_EviiiT0_lT1_lli.num_named_barrier, 0
	.set _ZL26rocblas_hscal_mlt_4_kernelILi256EDF16_PKPDF16_EviiiT0_lT1_lli.private_seg_size, 0
	.set _ZL26rocblas_hscal_mlt_4_kernelILi256EDF16_PKPDF16_EviiiT0_lT1_lli.uses_vcc, 1
	.set _ZL26rocblas_hscal_mlt_4_kernelILi256EDF16_PKPDF16_EviiiT0_lT1_lli.uses_flat_scratch, 0
	.set _ZL26rocblas_hscal_mlt_4_kernelILi256EDF16_PKPDF16_EviiiT0_lT1_lli.has_dyn_sized_stack, 0
	.set _ZL26rocblas_hscal_mlt_4_kernelILi256EDF16_PKPDF16_EviiiT0_lT1_lli.has_recursion, 0
	.set _ZL26rocblas_hscal_mlt_4_kernelILi256EDF16_PKPDF16_EviiiT0_lT1_lli.has_indirect_call, 0
	.section	.AMDGPU.csdata,"",@progbits
; Kernel info:
; codeLenInByte = 580
; TotalNumSgprs: 30
; NumVgprs: 6
; ScratchSize: 0
; MemoryBound: 0
; FloatMode: 240
; IeeeMode: 1
; LDSByteSize: 0 bytes/workgroup (compile time only)
; SGPRBlocks: 0
; VGPRBlocks: 0
; NumSGPRsForWavesPerEU: 30
; NumVGPRsForWavesPerEU: 6
; NamedBarCnt: 0
; Occupancy: 16
; WaveLimiterHint : 1
; COMPUTE_PGM_RSRC2:SCRATCH_EN: 0
; COMPUTE_PGM_RSRC2:USER_SGPR: 2
; COMPUTE_PGM_RSRC2:TRAP_HANDLER: 0
; COMPUTE_PGM_RSRC2:TGID_X_EN: 1
; COMPUTE_PGM_RSRC2:TGID_Y_EN: 0
; COMPUTE_PGM_RSRC2:TGID_Z_EN: 1
; COMPUTE_PGM_RSRC2:TIDIG_COMP_CNT: 0
	.section	.text._ZL19rocblas_scal_kernelIiLi256EDF16_DF16_PKDF16_PKPDF16_EviT3_lT4_lT_li,"axG",@progbits,_ZL19rocblas_scal_kernelIiLi256EDF16_DF16_PKDF16_PKPDF16_EviT3_lT4_lT_li,comdat
	.globl	_ZL19rocblas_scal_kernelIiLi256EDF16_DF16_PKDF16_PKPDF16_EviT3_lT4_lT_li ; -- Begin function _ZL19rocblas_scal_kernelIiLi256EDF16_DF16_PKDF16_PKPDF16_EviT3_lT4_lT_li
	.p2align	8
	.type	_ZL19rocblas_scal_kernelIiLi256EDF16_DF16_PKDF16_PKPDF16_EviT3_lT4_lT_li,@function
_ZL19rocblas_scal_kernelIiLi256EDF16_DF16_PKDF16_PKPDF16_EviT3_lT4_lT_li: ; @_ZL19rocblas_scal_kernelIiLi256EDF16_DF16_PKDF16_PKPDF16_EviT3_lT4_lT_li
; %bb.0:
	s_load_b32 s12, s[0:1], 0x38
	s_bfe_u32 s2, ttmp6, 0x40014
	s_lshr_b32 s3, ttmp7, 16
	s_add_co_i32 s2, s2, 1
	s_bfe_u32 s5, ttmp6, 0x40008
	s_mul_i32 s2, s3, s2
	s_getreg_b32 s4, hwreg(HW_REG_IB_STS2, 6, 4)
	s_add_co_i32 s5, s5, s2
	s_cmp_eq_u32 s4, 0
	s_cselect_b32 s2, s3, s5
	s_mov_b32 s3, 0
	s_wait_kmcnt 0x0
	s_cmp_ge_u32 s2, s12
	s_cbranch_scc1 .LBB42_5
; %bb.1:
	s_load_b32 s6, s[0:1], 0x28
	s_bfe_u32 s5, ttmp6, 0x4000c
	s_and_b32 s7, ttmp6, 15
	s_add_co_i32 s5, s5, 1
	v_mov_b32_e32 v1, 0
	s_mul_i32 s5, ttmp9, s5
	s_delay_alu instid0(SALU_CYCLE_1) | instskip(SKIP_4) | instid1(SALU_CYCLE_1)
	s_add_co_i32 s5, s7, s5
	s_wait_kmcnt 0x0
	s_ashr_i32 s7, s6, 31
	s_cmp_eq_u32 s4, 0
	s_cselect_b32 s4, ttmp9, s5
	v_lshl_or_b32 v0, s4, 8, v0
	s_delay_alu instid0(VALU_DEP_1)
	v_mul_u64_e32 v[2:3], s[6:7], v[0:1]
	s_clause 0x1
	s_load_b32 s13, s[0:1], 0x0
	s_load_b256 s[4:11], s[0:1], 0x8
	s_wait_kmcnt 0x0
	v_cmp_gt_u32_e32 vcc_lo, s13, v0
	s_lshl_b64 s[0:1], s[10:11], 1
	s_branch .LBB42_3
.LBB42_2:                               ;   in Loop: Header=BB42_3 Depth=1
	s_wait_xcnt 0x0
	s_or_b32 exec_lo, exec_lo, s10
	s_add_co_i32 s2, s2, 0x10000
	s_delay_alu instid0(SALU_CYCLE_1)
	s_cmp_lt_u32 s2, s12
	s_cbranch_scc0 .LBB42_5
.LBB42_3:                               ; =>This Inner Loop Header: Depth=1
	s_mul_u64 s[10:11], s[6:7], s[2:3]
	s_delay_alu instid0(SALU_CYCLE_1) | instskip(NEXT) | instid1(SALU_CYCLE_1)
	s_lshl_b64 s[10:11], s[10:11], 1
	s_add_nc_u64 s[10:11], s[4:5], s[10:11]
	global_load_u16 v0, v1, s[10:11]
	s_wait_loadcnt 0x0
	s_wait_xcnt 0x0
	v_readfirstlane_b32 s10, v0
	s_cmp_neq_f16 s10, 0x3c00
	s_cselect_b32 s10, -1, 0
	s_delay_alu instid0(SALU_CYCLE_1) | instskip(NEXT) | instid1(SALU_CYCLE_1)
	s_and_b32 s11, vcc_lo, s10
	s_and_saveexec_b32 s10, s11
	s_cbranch_execz .LBB42_2
; %bb.4:                                ;   in Loop: Header=BB42_3 Depth=1
	s_lshl_b64 s[14:15], s[2:3], 3
	s_delay_alu instid0(SALU_CYCLE_1) | instskip(SKIP_4) | instid1(SALU_CYCLE_1)
	s_add_nc_u64 s[14:15], s[8:9], s[14:15]
	s_load_b64 s[14:15], s[14:15], 0x0
	s_wait_kmcnt 0x0
	s_wait_xcnt 0x0
	s_add_nc_u64 s[14:15], s[14:15], s[0:1]
	v_lshl_add_u64 v[4:5], v[2:3], 1, s[14:15]
	flat_load_u16 v6, v[4:5]
	s_wait_loadcnt_dscnt 0x0
	v_mul_f16_e32 v0, v0, v6
	flat_store_b16 v[4:5], v0
	s_branch .LBB42_2
.LBB42_5:
	s_endpgm
	.section	.rodata,"a",@progbits
	.p2align	6, 0x0
	.amdhsa_kernel _ZL19rocblas_scal_kernelIiLi256EDF16_DF16_PKDF16_PKPDF16_EviT3_lT4_lT_li
		.amdhsa_group_segment_fixed_size 0
		.amdhsa_private_segment_fixed_size 0
		.amdhsa_kernarg_size 60
		.amdhsa_user_sgpr_count 2
		.amdhsa_user_sgpr_dispatch_ptr 0
		.amdhsa_user_sgpr_queue_ptr 0
		.amdhsa_user_sgpr_kernarg_segment_ptr 1
		.amdhsa_user_sgpr_dispatch_id 0
		.amdhsa_user_sgpr_kernarg_preload_length 0
		.amdhsa_user_sgpr_kernarg_preload_offset 0
		.amdhsa_user_sgpr_private_segment_size 0
		.amdhsa_wavefront_size32 1
		.amdhsa_uses_dynamic_stack 0
		.amdhsa_enable_private_segment 0
		.amdhsa_system_sgpr_workgroup_id_x 1
		.amdhsa_system_sgpr_workgroup_id_y 0
		.amdhsa_system_sgpr_workgroup_id_z 1
		.amdhsa_system_sgpr_workgroup_info 0
		.amdhsa_system_vgpr_workitem_id 0
		.amdhsa_next_free_vgpr 7
		.amdhsa_next_free_sgpr 16
		.amdhsa_named_barrier_count 0
		.amdhsa_reserve_vcc 1
		.amdhsa_float_round_mode_32 0
		.amdhsa_float_round_mode_16_64 0
		.amdhsa_float_denorm_mode_32 3
		.amdhsa_float_denorm_mode_16_64 3
		.amdhsa_fp16_overflow 0
		.amdhsa_memory_ordered 1
		.amdhsa_forward_progress 1
		.amdhsa_inst_pref_size 3
		.amdhsa_round_robin_scheduling 0
		.amdhsa_exception_fp_ieee_invalid_op 0
		.amdhsa_exception_fp_denorm_src 0
		.amdhsa_exception_fp_ieee_div_zero 0
		.amdhsa_exception_fp_ieee_overflow 0
		.amdhsa_exception_fp_ieee_underflow 0
		.amdhsa_exception_fp_ieee_inexact 0
		.amdhsa_exception_int_div_zero 0
	.end_amdhsa_kernel
	.section	.text._ZL19rocblas_scal_kernelIiLi256EDF16_DF16_PKDF16_PKPDF16_EviT3_lT4_lT_li,"axG",@progbits,_ZL19rocblas_scal_kernelIiLi256EDF16_DF16_PKDF16_PKPDF16_EviT3_lT4_lT_li,comdat
.Lfunc_end42:
	.size	_ZL19rocblas_scal_kernelIiLi256EDF16_DF16_PKDF16_PKPDF16_EviT3_lT4_lT_li, .Lfunc_end42-_ZL19rocblas_scal_kernelIiLi256EDF16_DF16_PKDF16_PKPDF16_EviT3_lT4_lT_li
                                        ; -- End function
	.set _ZL19rocblas_scal_kernelIiLi256EDF16_DF16_PKDF16_PKPDF16_EviT3_lT4_lT_li.num_vgpr, 7
	.set _ZL19rocblas_scal_kernelIiLi256EDF16_DF16_PKDF16_PKPDF16_EviT3_lT4_lT_li.num_agpr, 0
	.set _ZL19rocblas_scal_kernelIiLi256EDF16_DF16_PKDF16_PKPDF16_EviT3_lT4_lT_li.numbered_sgpr, 16
	.set _ZL19rocblas_scal_kernelIiLi256EDF16_DF16_PKDF16_PKPDF16_EviT3_lT4_lT_li.num_named_barrier, 0
	.set _ZL19rocblas_scal_kernelIiLi256EDF16_DF16_PKDF16_PKPDF16_EviT3_lT4_lT_li.private_seg_size, 0
	.set _ZL19rocblas_scal_kernelIiLi256EDF16_DF16_PKDF16_PKPDF16_EviT3_lT4_lT_li.uses_vcc, 1
	.set _ZL19rocblas_scal_kernelIiLi256EDF16_DF16_PKDF16_PKPDF16_EviT3_lT4_lT_li.uses_flat_scratch, 0
	.set _ZL19rocblas_scal_kernelIiLi256EDF16_DF16_PKDF16_PKPDF16_EviT3_lT4_lT_li.has_dyn_sized_stack, 0
	.set _ZL19rocblas_scal_kernelIiLi256EDF16_DF16_PKDF16_PKPDF16_EviT3_lT4_lT_li.has_recursion, 0
	.set _ZL19rocblas_scal_kernelIiLi256EDF16_DF16_PKDF16_PKPDF16_EviT3_lT4_lT_li.has_indirect_call, 0
	.section	.AMDGPU.csdata,"",@progbits
; Kernel info:
; codeLenInByte = 352
; TotalNumSgprs: 18
; NumVgprs: 7
; ScratchSize: 0
; MemoryBound: 0
; FloatMode: 240
; IeeeMode: 1
; LDSByteSize: 0 bytes/workgroup (compile time only)
; SGPRBlocks: 0
; VGPRBlocks: 0
; NumSGPRsForWavesPerEU: 18
; NumVGPRsForWavesPerEU: 7
; NamedBarCnt: 0
; Occupancy: 16
; WaveLimiterHint : 1
; COMPUTE_PGM_RSRC2:SCRATCH_EN: 0
; COMPUTE_PGM_RSRC2:USER_SGPR: 2
; COMPUTE_PGM_RSRC2:TRAP_HANDLER: 0
; COMPUTE_PGM_RSRC2:TGID_X_EN: 1
; COMPUTE_PGM_RSRC2:TGID_Y_EN: 0
; COMPUTE_PGM_RSRC2:TGID_Z_EN: 1
; COMPUTE_PGM_RSRC2:TIDIG_COMP_CNT: 0
	.section	.text._ZL19rocblas_scal_kernelIiLi256EDF16_DF16_DF16_PKPDF16_EviT3_lT4_lT_li,"axG",@progbits,_ZL19rocblas_scal_kernelIiLi256EDF16_DF16_DF16_PKPDF16_EviT3_lT4_lT_li,comdat
	.globl	_ZL19rocblas_scal_kernelIiLi256EDF16_DF16_DF16_PKPDF16_EviT3_lT4_lT_li ; -- Begin function _ZL19rocblas_scal_kernelIiLi256EDF16_DF16_DF16_PKPDF16_EviT3_lT4_lT_li
	.p2align	8
	.type	_ZL19rocblas_scal_kernelIiLi256EDF16_DF16_DF16_PKPDF16_EviT3_lT4_lT_li,@function
_ZL19rocblas_scal_kernelIiLi256EDF16_DF16_DF16_PKPDF16_EviT3_lT4_lT_li: ; @_ZL19rocblas_scal_kernelIiLi256EDF16_DF16_DF16_PKPDF16_EviT3_lT4_lT_li
; %bb.0:
	s_load_b32 s8, s[0:1], 0x30
	s_bfe_u32 s2, ttmp6, 0x40014
	s_lshr_b32 s3, ttmp7, 16
	s_add_co_i32 s2, s2, 1
	s_bfe_u32 s5, ttmp6, 0x40008
	s_mul_i32 s4, s3, s2
	s_getreg_b32 s2, hwreg(HW_REG_IB_STS2, 6, 4)
	s_add_co_i32 s5, s5, s4
	s_cmp_eq_u32 s2, 0
	s_cselect_b32 s9, s3, s5
	s_wait_kmcnt 0x0
	s_cmp_ge_u32 s9, s8
	s_cbranch_scc1 .LBB43_5
; %bb.1:
	s_load_b32 s4, s[0:1], 0x20
	s_bfe_u32 s3, ttmp6, 0x4000c
	s_and_b32 s5, ttmp6, 15
	s_add_co_i32 s3, s3, 1
	v_mov_b32_e32 v3, 0
	s_mul_i32 s3, ttmp9, s3
	s_delay_alu instid0(SALU_CYCLE_1) | instskip(SKIP_4) | instid1(SALU_CYCLE_1)
	s_add_co_i32 s3, s5, s3
	s_wait_kmcnt 0x0
	s_ashr_i32 s5, s4, 31
	s_cmp_eq_u32 s2, 0
	s_cselect_b32 s2, ttmp9, s3
	v_lshl_or_b32 v2, s2, 8, v0
	s_delay_alu instid0(VALU_DEP_1)
	v_mul_u64_e32 v[0:1], s[4:5], v[2:3]
	s_clause 0x1
	s_load_b64 s[2:3], s[0:1], 0x0
	s_load_b128 s[4:7], s[0:1], 0x10
	s_wait_kmcnt 0x0
	s_cmp_neq_f16 s3, 0x3c00
	v_cmp_gt_u32_e32 vcc_lo, s2, v2
	s_cselect_b32 s0, -1, 0
	s_delay_alu instid0(SALU_CYCLE_1)
	s_and_b32 s2, vcc_lo, s0
	s_lshl_b64 s[0:1], s[6:7], 1
	s_branch .LBB43_3
.LBB43_2:                               ;   in Loop: Header=BB43_3 Depth=1
	s_wait_xcnt 0x0
	s_or_b32 exec_lo, exec_lo, s6
	s_add_co_i32 s9, s9, 0x10000
	s_delay_alu instid0(SALU_CYCLE_1)
	s_cmp_lt_u32 s9, s8
	s_cbranch_scc0 .LBB43_5
.LBB43_3:                               ; =>This Inner Loop Header: Depth=1
	s_and_saveexec_b32 s6, s2
	s_cbranch_execz .LBB43_2
; %bb.4:                                ;   in Loop: Header=BB43_3 Depth=1
	s_load_b64 s[10:11], s[4:5], s9 offset:0x0 scale_offset
	s_wait_kmcnt 0x0
	s_add_nc_u64 s[10:11], s[10:11], s[0:1]
	s_delay_alu instid0(VALU_DEP_2) | instid1(SALU_CYCLE_1)
	v_lshl_add_u64 v[2:3], v[0:1], 1, s[10:11]
	flat_load_u16 v4, v[2:3]
	s_wait_loadcnt_dscnt 0x0
	v_mul_f16_e32 v4, s3, v4
	flat_store_b16 v[2:3], v4
	s_branch .LBB43_2
.LBB43_5:
	s_endpgm
	.section	.rodata,"a",@progbits
	.p2align	6, 0x0
	.amdhsa_kernel _ZL19rocblas_scal_kernelIiLi256EDF16_DF16_DF16_PKPDF16_EviT3_lT4_lT_li
		.amdhsa_group_segment_fixed_size 0
		.amdhsa_private_segment_fixed_size 0
		.amdhsa_kernarg_size 52
		.amdhsa_user_sgpr_count 2
		.amdhsa_user_sgpr_dispatch_ptr 0
		.amdhsa_user_sgpr_queue_ptr 0
		.amdhsa_user_sgpr_kernarg_segment_ptr 1
		.amdhsa_user_sgpr_dispatch_id 0
		.amdhsa_user_sgpr_kernarg_preload_length 0
		.amdhsa_user_sgpr_kernarg_preload_offset 0
		.amdhsa_user_sgpr_private_segment_size 0
		.amdhsa_wavefront_size32 1
		.amdhsa_uses_dynamic_stack 0
		.amdhsa_enable_private_segment 0
		.amdhsa_system_sgpr_workgroup_id_x 1
		.amdhsa_system_sgpr_workgroup_id_y 0
		.amdhsa_system_sgpr_workgroup_id_z 1
		.amdhsa_system_sgpr_workgroup_info 0
		.amdhsa_system_vgpr_workitem_id 0
		.amdhsa_next_free_vgpr 5
		.amdhsa_next_free_sgpr 12
		.amdhsa_named_barrier_count 0
		.amdhsa_reserve_vcc 1
		.amdhsa_float_round_mode_32 0
		.amdhsa_float_round_mode_16_64 0
		.amdhsa_float_denorm_mode_32 3
		.amdhsa_float_denorm_mode_16_64 3
		.amdhsa_fp16_overflow 0
		.amdhsa_memory_ordered 1
		.amdhsa_forward_progress 1
		.amdhsa_inst_pref_size 3
		.amdhsa_round_robin_scheduling 0
		.amdhsa_exception_fp_ieee_invalid_op 0
		.amdhsa_exception_fp_denorm_src 0
		.amdhsa_exception_fp_ieee_div_zero 0
		.amdhsa_exception_fp_ieee_overflow 0
		.amdhsa_exception_fp_ieee_underflow 0
		.amdhsa_exception_fp_ieee_inexact 0
		.amdhsa_exception_int_div_zero 0
	.end_amdhsa_kernel
	.section	.text._ZL19rocblas_scal_kernelIiLi256EDF16_DF16_DF16_PKPDF16_EviT3_lT4_lT_li,"axG",@progbits,_ZL19rocblas_scal_kernelIiLi256EDF16_DF16_DF16_PKPDF16_EviT3_lT4_lT_li,comdat
.Lfunc_end43:
	.size	_ZL19rocblas_scal_kernelIiLi256EDF16_DF16_DF16_PKPDF16_EviT3_lT4_lT_li, .Lfunc_end43-_ZL19rocblas_scal_kernelIiLi256EDF16_DF16_DF16_PKPDF16_EviT3_lT4_lT_li
                                        ; -- End function
	.set _ZL19rocblas_scal_kernelIiLi256EDF16_DF16_DF16_PKPDF16_EviT3_lT4_lT_li.num_vgpr, 5
	.set _ZL19rocblas_scal_kernelIiLi256EDF16_DF16_DF16_PKPDF16_EviT3_lT4_lT_li.num_agpr, 0
	.set _ZL19rocblas_scal_kernelIiLi256EDF16_DF16_DF16_PKPDF16_EviT3_lT4_lT_li.numbered_sgpr, 12
	.set _ZL19rocblas_scal_kernelIiLi256EDF16_DF16_DF16_PKPDF16_EviT3_lT4_lT_li.num_named_barrier, 0
	.set _ZL19rocblas_scal_kernelIiLi256EDF16_DF16_DF16_PKPDF16_EviT3_lT4_lT_li.private_seg_size, 0
	.set _ZL19rocblas_scal_kernelIiLi256EDF16_DF16_DF16_PKPDF16_EviT3_lT4_lT_li.uses_vcc, 1
	.set _ZL19rocblas_scal_kernelIiLi256EDF16_DF16_DF16_PKPDF16_EviT3_lT4_lT_li.uses_flat_scratch, 0
	.set _ZL19rocblas_scal_kernelIiLi256EDF16_DF16_DF16_PKPDF16_EviT3_lT4_lT_li.has_dyn_sized_stack, 0
	.set _ZL19rocblas_scal_kernelIiLi256EDF16_DF16_DF16_PKPDF16_EviT3_lT4_lT_li.has_recursion, 0
	.set _ZL19rocblas_scal_kernelIiLi256EDF16_DF16_DF16_PKPDF16_EviT3_lT4_lT_li.has_indirect_call, 0
	.section	.AMDGPU.csdata,"",@progbits
; Kernel info:
; codeLenInByte = 296
; TotalNumSgprs: 14
; NumVgprs: 5
; ScratchSize: 0
; MemoryBound: 0
; FloatMode: 240
; IeeeMode: 1
; LDSByteSize: 0 bytes/workgroup (compile time only)
; SGPRBlocks: 0
; VGPRBlocks: 0
; NumSGPRsForWavesPerEU: 14
; NumVGPRsForWavesPerEU: 5
; NamedBarCnt: 0
; Occupancy: 16
; WaveLimiterHint : 1
; COMPUTE_PGM_RSRC2:SCRATCH_EN: 0
; COMPUTE_PGM_RSRC2:USER_SGPR: 2
; COMPUTE_PGM_RSRC2:TRAP_HANDLER: 0
; COMPUTE_PGM_RSRC2:TGID_X_EN: 1
; COMPUTE_PGM_RSRC2:TGID_Y_EN: 0
; COMPUTE_PGM_RSRC2:TGID_Z_EN: 1
; COMPUTE_PGM_RSRC2:TIDIG_COMP_CNT: 0
	.section	.text._ZL19rocblas_scal_kernelIlLi256EDF16_DF16_PKDF16_PKPDF16_EviT3_lT4_lT_li,"axG",@progbits,_ZL19rocblas_scal_kernelIlLi256EDF16_DF16_PKDF16_PKPDF16_EviT3_lT4_lT_li,comdat
	.globl	_ZL19rocblas_scal_kernelIlLi256EDF16_DF16_PKDF16_PKPDF16_EviT3_lT4_lT_li ; -- Begin function _ZL19rocblas_scal_kernelIlLi256EDF16_DF16_PKDF16_PKPDF16_EviT3_lT4_lT_li
	.p2align	8
	.type	_ZL19rocblas_scal_kernelIlLi256EDF16_DF16_PKDF16_PKPDF16_EviT3_lT4_lT_li,@function
_ZL19rocblas_scal_kernelIlLi256EDF16_DF16_PKDF16_PKPDF16_EviT3_lT4_lT_li: ; @_ZL19rocblas_scal_kernelIlLi256EDF16_DF16_PKDF16_PKPDF16_EviT3_lT4_lT_li
; %bb.0:
	s_load_b32 s12, s[0:1], 0x38
	s_bfe_u32 s2, ttmp6, 0x40014
	s_lshr_b32 s3, ttmp7, 16
	s_add_co_i32 s2, s2, 1
	s_bfe_u32 s5, ttmp6, 0x40008
	s_mul_i32 s2, s3, s2
	s_getreg_b32 s4, hwreg(HW_REG_IB_STS2, 6, 4)
	s_add_co_i32 s5, s5, s2
	s_cmp_eq_u32 s4, 0
	s_cselect_b32 s2, s3, s5
	s_mov_b32 s3, 0
	s_wait_kmcnt 0x0
	s_cmp_ge_u32 s2, s12
	s_cbranch_scc1 .LBB44_5
; %bb.1:
	s_load_b64 s[6:7], s[0:1], 0x28
	s_bfe_u32 s5, ttmp6, 0x4000c
	s_and_b32 s8, ttmp6, 15
	s_add_co_i32 s5, s5, 1
	v_mov_b32_e32 v1, 0
	s_mul_i32 s5, ttmp9, s5
	s_delay_alu instid0(SALU_CYCLE_1) | instskip(SKIP_2) | instid1(SALU_CYCLE_1)
	s_add_co_i32 s8, s8, s5
	s_cmp_eq_u32 s4, 0
	s_cselect_b32 s4, ttmp9, s8
	v_lshl_or_b32 v0, s4, 8, v0
	s_wait_kmcnt 0x0
	s_delay_alu instid0(VALU_DEP_1)
	v_mul_u64_e32 v[2:3], s[6:7], v[0:1]
	s_clause 0x1
	s_load_b32 s13, s[0:1], 0x0
	s_load_b256 s[4:11], s[0:1], 0x8
	s_wait_kmcnt 0x0
	v_cmp_gt_u32_e32 vcc_lo, s13, v0
	s_lshl_b64 s[0:1], s[10:11], 1
	s_branch .LBB44_3
.LBB44_2:                               ;   in Loop: Header=BB44_3 Depth=1
	s_wait_xcnt 0x0
	s_or_b32 exec_lo, exec_lo, s10
	s_add_co_i32 s2, s2, 0x10000
	s_delay_alu instid0(SALU_CYCLE_1)
	s_cmp_lt_u32 s2, s12
	s_cbranch_scc0 .LBB44_5
.LBB44_3:                               ; =>This Inner Loop Header: Depth=1
	s_mul_u64 s[10:11], s[6:7], s[2:3]
	s_delay_alu instid0(SALU_CYCLE_1) | instskip(NEXT) | instid1(SALU_CYCLE_1)
	s_lshl_b64 s[10:11], s[10:11], 1
	s_add_nc_u64 s[10:11], s[4:5], s[10:11]
	global_load_u16 v0, v1, s[10:11]
	s_wait_loadcnt 0x0
	s_wait_xcnt 0x0
	v_readfirstlane_b32 s10, v0
	s_cmp_neq_f16 s10, 0x3c00
	s_cselect_b32 s10, -1, 0
	s_delay_alu instid0(SALU_CYCLE_1) | instskip(NEXT) | instid1(SALU_CYCLE_1)
	s_and_b32 s11, vcc_lo, s10
	s_and_saveexec_b32 s10, s11
	s_cbranch_execz .LBB44_2
; %bb.4:                                ;   in Loop: Header=BB44_3 Depth=1
	s_lshl_b64 s[14:15], s[2:3], 3
	s_delay_alu instid0(SALU_CYCLE_1) | instskip(SKIP_4) | instid1(SALU_CYCLE_1)
	s_add_nc_u64 s[14:15], s[8:9], s[14:15]
	s_load_b64 s[14:15], s[14:15], 0x0
	s_wait_kmcnt 0x0
	s_wait_xcnt 0x0
	s_add_nc_u64 s[14:15], s[14:15], s[0:1]
	v_lshl_add_u64 v[4:5], v[2:3], 1, s[14:15]
	flat_load_u16 v6, v[4:5]
	s_wait_loadcnt_dscnt 0x0
	v_mul_f16_e32 v0, v0, v6
	flat_store_b16 v[4:5], v0
	s_branch .LBB44_2
.LBB44_5:
	s_endpgm
	.section	.rodata,"a",@progbits
	.p2align	6, 0x0
	.amdhsa_kernel _ZL19rocblas_scal_kernelIlLi256EDF16_DF16_PKDF16_PKPDF16_EviT3_lT4_lT_li
		.amdhsa_group_segment_fixed_size 0
		.amdhsa_private_segment_fixed_size 0
		.amdhsa_kernarg_size 60
		.amdhsa_user_sgpr_count 2
		.amdhsa_user_sgpr_dispatch_ptr 0
		.amdhsa_user_sgpr_queue_ptr 0
		.amdhsa_user_sgpr_kernarg_segment_ptr 1
		.amdhsa_user_sgpr_dispatch_id 0
		.amdhsa_user_sgpr_kernarg_preload_length 0
		.amdhsa_user_sgpr_kernarg_preload_offset 0
		.amdhsa_user_sgpr_private_segment_size 0
		.amdhsa_wavefront_size32 1
		.amdhsa_uses_dynamic_stack 0
		.amdhsa_enable_private_segment 0
		.amdhsa_system_sgpr_workgroup_id_x 1
		.amdhsa_system_sgpr_workgroup_id_y 0
		.amdhsa_system_sgpr_workgroup_id_z 1
		.amdhsa_system_sgpr_workgroup_info 0
		.amdhsa_system_vgpr_workitem_id 0
		.amdhsa_next_free_vgpr 7
		.amdhsa_next_free_sgpr 16
		.amdhsa_named_barrier_count 0
		.amdhsa_reserve_vcc 1
		.amdhsa_float_round_mode_32 0
		.amdhsa_float_round_mode_16_64 0
		.amdhsa_float_denorm_mode_32 3
		.amdhsa_float_denorm_mode_16_64 3
		.amdhsa_fp16_overflow 0
		.amdhsa_memory_ordered 1
		.amdhsa_forward_progress 1
		.amdhsa_inst_pref_size 3
		.amdhsa_round_robin_scheduling 0
		.amdhsa_exception_fp_ieee_invalid_op 0
		.amdhsa_exception_fp_denorm_src 0
		.amdhsa_exception_fp_ieee_div_zero 0
		.amdhsa_exception_fp_ieee_overflow 0
		.amdhsa_exception_fp_ieee_underflow 0
		.amdhsa_exception_fp_ieee_inexact 0
		.amdhsa_exception_int_div_zero 0
	.end_amdhsa_kernel
	.section	.text._ZL19rocblas_scal_kernelIlLi256EDF16_DF16_PKDF16_PKPDF16_EviT3_lT4_lT_li,"axG",@progbits,_ZL19rocblas_scal_kernelIlLi256EDF16_DF16_PKDF16_PKPDF16_EviT3_lT4_lT_li,comdat
.Lfunc_end44:
	.size	_ZL19rocblas_scal_kernelIlLi256EDF16_DF16_PKDF16_PKPDF16_EviT3_lT4_lT_li, .Lfunc_end44-_ZL19rocblas_scal_kernelIlLi256EDF16_DF16_PKDF16_PKPDF16_EviT3_lT4_lT_li
                                        ; -- End function
	.set _ZL19rocblas_scal_kernelIlLi256EDF16_DF16_PKDF16_PKPDF16_EviT3_lT4_lT_li.num_vgpr, 7
	.set _ZL19rocblas_scal_kernelIlLi256EDF16_DF16_PKDF16_PKPDF16_EviT3_lT4_lT_li.num_agpr, 0
	.set _ZL19rocblas_scal_kernelIlLi256EDF16_DF16_PKDF16_PKPDF16_EviT3_lT4_lT_li.numbered_sgpr, 16
	.set _ZL19rocblas_scal_kernelIlLi256EDF16_DF16_PKDF16_PKPDF16_EviT3_lT4_lT_li.num_named_barrier, 0
	.set _ZL19rocblas_scal_kernelIlLi256EDF16_DF16_PKDF16_PKPDF16_EviT3_lT4_lT_li.private_seg_size, 0
	.set _ZL19rocblas_scal_kernelIlLi256EDF16_DF16_PKDF16_PKPDF16_EviT3_lT4_lT_li.uses_vcc, 1
	.set _ZL19rocblas_scal_kernelIlLi256EDF16_DF16_PKDF16_PKPDF16_EviT3_lT4_lT_li.uses_flat_scratch, 0
	.set _ZL19rocblas_scal_kernelIlLi256EDF16_DF16_PKDF16_PKPDF16_EviT3_lT4_lT_li.has_dyn_sized_stack, 0
	.set _ZL19rocblas_scal_kernelIlLi256EDF16_DF16_PKDF16_PKPDF16_EviT3_lT4_lT_li.has_recursion, 0
	.set _ZL19rocblas_scal_kernelIlLi256EDF16_DF16_PKDF16_PKPDF16_EviT3_lT4_lT_li.has_indirect_call, 0
	.section	.AMDGPU.csdata,"",@progbits
; Kernel info:
; codeLenInByte = 348
; TotalNumSgprs: 18
; NumVgprs: 7
; ScratchSize: 0
; MemoryBound: 0
; FloatMode: 240
; IeeeMode: 1
; LDSByteSize: 0 bytes/workgroup (compile time only)
; SGPRBlocks: 0
; VGPRBlocks: 0
; NumSGPRsForWavesPerEU: 18
; NumVGPRsForWavesPerEU: 7
; NamedBarCnt: 0
; Occupancy: 16
; WaveLimiterHint : 1
; COMPUTE_PGM_RSRC2:SCRATCH_EN: 0
; COMPUTE_PGM_RSRC2:USER_SGPR: 2
; COMPUTE_PGM_RSRC2:TRAP_HANDLER: 0
; COMPUTE_PGM_RSRC2:TGID_X_EN: 1
; COMPUTE_PGM_RSRC2:TGID_Y_EN: 0
; COMPUTE_PGM_RSRC2:TGID_Z_EN: 1
; COMPUTE_PGM_RSRC2:TIDIG_COMP_CNT: 0
	.section	.text._ZL19rocblas_scal_kernelIlLi256EDF16_DF16_DF16_PKPDF16_EviT3_lT4_lT_li,"axG",@progbits,_ZL19rocblas_scal_kernelIlLi256EDF16_DF16_DF16_PKPDF16_EviT3_lT4_lT_li,comdat
	.globl	_ZL19rocblas_scal_kernelIlLi256EDF16_DF16_DF16_PKPDF16_EviT3_lT4_lT_li ; -- Begin function _ZL19rocblas_scal_kernelIlLi256EDF16_DF16_DF16_PKPDF16_EviT3_lT4_lT_li
	.p2align	8
	.type	_ZL19rocblas_scal_kernelIlLi256EDF16_DF16_DF16_PKPDF16_EviT3_lT4_lT_li,@function
_ZL19rocblas_scal_kernelIlLi256EDF16_DF16_DF16_PKPDF16_EviT3_lT4_lT_li: ; @_ZL19rocblas_scal_kernelIlLi256EDF16_DF16_DF16_PKPDF16_EviT3_lT4_lT_li
; %bb.0:
	s_load_b32 s8, s[0:1], 0x30
	s_bfe_u32 s2, ttmp6, 0x40014
	s_lshr_b32 s3, ttmp7, 16
	s_add_co_i32 s2, s2, 1
	s_bfe_u32 s5, ttmp6, 0x40008
	s_mul_i32 s4, s3, s2
	s_getreg_b32 s2, hwreg(HW_REG_IB_STS2, 6, 4)
	s_add_co_i32 s5, s5, s4
	s_cmp_eq_u32 s2, 0
	s_cselect_b32 s9, s3, s5
	s_wait_kmcnt 0x0
	s_cmp_ge_u32 s9, s8
	s_cbranch_scc1 .LBB45_5
; %bb.1:
	s_load_b64 s[4:5], s[0:1], 0x20
	s_bfe_u32 s3, ttmp6, 0x4000c
	s_and_b32 s6, ttmp6, 15
	s_add_co_i32 s3, s3, 1
	v_mov_b32_e32 v3, 0
	s_mul_i32 s3, ttmp9, s3
	s_delay_alu instid0(SALU_CYCLE_1) | instskip(SKIP_2) | instid1(SALU_CYCLE_1)
	s_add_co_i32 s6, s6, s3
	s_cmp_eq_u32 s2, 0
	s_cselect_b32 s2, ttmp9, s6
	v_lshl_or_b32 v2, s2, 8, v0
	s_wait_kmcnt 0x0
	s_delay_alu instid0(VALU_DEP_1)
	v_mul_u64_e32 v[0:1], s[4:5], v[2:3]
	s_clause 0x1
	s_load_b64 s[2:3], s[0:1], 0x0
	s_load_b128 s[4:7], s[0:1], 0x10
	s_wait_kmcnt 0x0
	s_cmp_neq_f16 s3, 0x3c00
	v_cmp_gt_u32_e32 vcc_lo, s2, v2
	s_cselect_b32 s0, -1, 0
	s_delay_alu instid0(SALU_CYCLE_1)
	s_and_b32 s2, vcc_lo, s0
	s_lshl_b64 s[0:1], s[6:7], 1
	s_branch .LBB45_3
.LBB45_2:                               ;   in Loop: Header=BB45_3 Depth=1
	s_wait_xcnt 0x0
	s_or_b32 exec_lo, exec_lo, s6
	s_add_co_i32 s9, s9, 0x10000
	s_delay_alu instid0(SALU_CYCLE_1)
	s_cmp_lt_u32 s9, s8
	s_cbranch_scc0 .LBB45_5
.LBB45_3:                               ; =>This Inner Loop Header: Depth=1
	s_and_saveexec_b32 s6, s2
	s_cbranch_execz .LBB45_2
; %bb.4:                                ;   in Loop: Header=BB45_3 Depth=1
	s_load_b64 s[10:11], s[4:5], s9 offset:0x0 scale_offset
	s_wait_kmcnt 0x0
	s_add_nc_u64 s[10:11], s[10:11], s[0:1]
	s_delay_alu instid0(VALU_DEP_2) | instid1(SALU_CYCLE_1)
	v_lshl_add_u64 v[2:3], v[0:1], 1, s[10:11]
	flat_load_u16 v4, v[2:3]
	s_wait_loadcnt_dscnt 0x0
	v_mul_f16_e32 v4, s3, v4
	flat_store_b16 v[2:3], v4
	s_branch .LBB45_2
.LBB45_5:
	s_endpgm
	.section	.rodata,"a",@progbits
	.p2align	6, 0x0
	.amdhsa_kernel _ZL19rocblas_scal_kernelIlLi256EDF16_DF16_DF16_PKPDF16_EviT3_lT4_lT_li
		.amdhsa_group_segment_fixed_size 0
		.amdhsa_private_segment_fixed_size 0
		.amdhsa_kernarg_size 52
		.amdhsa_user_sgpr_count 2
		.amdhsa_user_sgpr_dispatch_ptr 0
		.amdhsa_user_sgpr_queue_ptr 0
		.amdhsa_user_sgpr_kernarg_segment_ptr 1
		.amdhsa_user_sgpr_dispatch_id 0
		.amdhsa_user_sgpr_kernarg_preload_length 0
		.amdhsa_user_sgpr_kernarg_preload_offset 0
		.amdhsa_user_sgpr_private_segment_size 0
		.amdhsa_wavefront_size32 1
		.amdhsa_uses_dynamic_stack 0
		.amdhsa_enable_private_segment 0
		.amdhsa_system_sgpr_workgroup_id_x 1
		.amdhsa_system_sgpr_workgroup_id_y 0
		.amdhsa_system_sgpr_workgroup_id_z 1
		.amdhsa_system_sgpr_workgroup_info 0
		.amdhsa_system_vgpr_workitem_id 0
		.amdhsa_next_free_vgpr 5
		.amdhsa_next_free_sgpr 12
		.amdhsa_named_barrier_count 0
		.amdhsa_reserve_vcc 1
		.amdhsa_float_round_mode_32 0
		.amdhsa_float_round_mode_16_64 0
		.amdhsa_float_denorm_mode_32 3
		.amdhsa_float_denorm_mode_16_64 3
		.amdhsa_fp16_overflow 0
		.amdhsa_memory_ordered 1
		.amdhsa_forward_progress 1
		.amdhsa_inst_pref_size 3
		.amdhsa_round_robin_scheduling 0
		.amdhsa_exception_fp_ieee_invalid_op 0
		.amdhsa_exception_fp_denorm_src 0
		.amdhsa_exception_fp_ieee_div_zero 0
		.amdhsa_exception_fp_ieee_overflow 0
		.amdhsa_exception_fp_ieee_underflow 0
		.amdhsa_exception_fp_ieee_inexact 0
		.amdhsa_exception_int_div_zero 0
	.end_amdhsa_kernel
	.section	.text._ZL19rocblas_scal_kernelIlLi256EDF16_DF16_DF16_PKPDF16_EviT3_lT4_lT_li,"axG",@progbits,_ZL19rocblas_scal_kernelIlLi256EDF16_DF16_DF16_PKPDF16_EviT3_lT4_lT_li,comdat
.Lfunc_end45:
	.size	_ZL19rocblas_scal_kernelIlLi256EDF16_DF16_DF16_PKPDF16_EviT3_lT4_lT_li, .Lfunc_end45-_ZL19rocblas_scal_kernelIlLi256EDF16_DF16_DF16_PKPDF16_EviT3_lT4_lT_li
                                        ; -- End function
	.set _ZL19rocblas_scal_kernelIlLi256EDF16_DF16_DF16_PKPDF16_EviT3_lT4_lT_li.num_vgpr, 5
	.set _ZL19rocblas_scal_kernelIlLi256EDF16_DF16_DF16_PKPDF16_EviT3_lT4_lT_li.num_agpr, 0
	.set _ZL19rocblas_scal_kernelIlLi256EDF16_DF16_DF16_PKPDF16_EviT3_lT4_lT_li.numbered_sgpr, 12
	.set _ZL19rocblas_scal_kernelIlLi256EDF16_DF16_DF16_PKPDF16_EviT3_lT4_lT_li.num_named_barrier, 0
	.set _ZL19rocblas_scal_kernelIlLi256EDF16_DF16_DF16_PKPDF16_EviT3_lT4_lT_li.private_seg_size, 0
	.set _ZL19rocblas_scal_kernelIlLi256EDF16_DF16_DF16_PKPDF16_EviT3_lT4_lT_li.uses_vcc, 1
	.set _ZL19rocblas_scal_kernelIlLi256EDF16_DF16_DF16_PKPDF16_EviT3_lT4_lT_li.uses_flat_scratch, 0
	.set _ZL19rocblas_scal_kernelIlLi256EDF16_DF16_DF16_PKPDF16_EviT3_lT4_lT_li.has_dyn_sized_stack, 0
	.set _ZL19rocblas_scal_kernelIlLi256EDF16_DF16_DF16_PKPDF16_EviT3_lT4_lT_li.has_recursion, 0
	.set _ZL19rocblas_scal_kernelIlLi256EDF16_DF16_DF16_PKPDF16_EviT3_lT4_lT_li.has_indirect_call, 0
	.section	.AMDGPU.csdata,"",@progbits
; Kernel info:
; codeLenInByte = 292
; TotalNumSgprs: 14
; NumVgprs: 5
; ScratchSize: 0
; MemoryBound: 0
; FloatMode: 240
; IeeeMode: 1
; LDSByteSize: 0 bytes/workgroup (compile time only)
; SGPRBlocks: 0
; VGPRBlocks: 0
; NumSGPRsForWavesPerEU: 14
; NumVGPRsForWavesPerEU: 5
; NamedBarCnt: 0
; Occupancy: 16
; WaveLimiterHint : 1
; COMPUTE_PGM_RSRC2:SCRATCH_EN: 0
; COMPUTE_PGM_RSRC2:USER_SGPR: 2
; COMPUTE_PGM_RSRC2:TRAP_HANDLER: 0
; COMPUTE_PGM_RSRC2:TGID_X_EN: 1
; COMPUTE_PGM_RSRC2:TGID_Y_EN: 0
; COMPUTE_PGM_RSRC2:TGID_Z_EN: 1
; COMPUTE_PGM_RSRC2:TIDIG_COMP_CNT: 0
	.section	.text._ZL22rocblas_sscal_2_kernelILi256EDF16_DF16_PKfPKPDF16_EviT2_lT3_lli,"axG",@progbits,_ZL22rocblas_sscal_2_kernelILi256EDF16_DF16_PKfPKPDF16_EviT2_lT3_lli,comdat
	.globl	_ZL22rocblas_sscal_2_kernelILi256EDF16_DF16_PKfPKPDF16_EviT2_lT3_lli ; -- Begin function _ZL22rocblas_sscal_2_kernelILi256EDF16_DF16_PKfPKPDF16_EviT2_lT3_lli
	.p2align	8
	.type	_ZL22rocblas_sscal_2_kernelILi256EDF16_DF16_PKfPKPDF16_EviT2_lT3_lli,@function
_ZL22rocblas_sscal_2_kernelILi256EDF16_DF16_PKfPKPDF16_EviT2_lT3_lli: ; @_ZL22rocblas_sscal_2_kernelILi256EDF16_DF16_PKfPKPDF16_EviT2_lT3_lli
; %bb.0:
	s_load_b32 s12, s[0:1], 0x30
	s_bfe_u32 s2, ttmp6, 0x40014
	s_lshr_b32 s3, ttmp7, 16
	s_add_co_i32 s2, s2, 1
	s_bfe_u32 s4, ttmp6, 0x40008
	s_mul_i32 s2, s3, s2
	s_getreg_b32 s13, hwreg(HW_REG_IB_STS2, 6, 4)
	s_add_co_i32 s4, s4, s2
	s_cmp_eq_u32 s13, 0
	s_cselect_b32 s2, s3, s4
	s_mov_b32 s3, 0
	s_wait_kmcnt 0x0
	s_cmp_ge_u32 s2, s12
	s_cbranch_scc1 .LBB46_9
; %bb.1:
	s_load_b32 s14, s[0:1], 0x0
	s_bfe_u32 s15, ttmp6, 0x4000c
	s_load_b256 s[4:11], s[0:1], 0x8
	s_add_co_i32 s15, s15, 1
	s_wait_xcnt 0x0
	s_and_b32 s0, ttmp6, 15
	s_mul_i32 s1, ttmp9, s15
	v_dual_mov_b32 v1, 0 :: v_dual_lshlrev_b32 v0, 1, v0
	s_add_co_i32 s0, s0, s1
	s_cmp_eq_u32 s13, 0
	s_cselect_b32 s0, ttmp9, s0
	s_delay_alu instid0(VALU_DEP_1) | instid1(SALU_CYCLE_1)
	v_lshl_or_b32 v0, s0, 9, v0
	s_delay_alu instid0(VALU_DEP_1)
	v_or_b32_e32 v2, 1, v0
	s_wait_kmcnt 0x0
	s_bitcmp1_b32 s14, 0
	s_cselect_b32 s1, -1, 0
	s_add_co_i32 s0, s14, -1
	v_cmp_gt_u32_e32 vcc_lo, s14, v2
	v_cmp_eq_u32_e64 s0, s0, v0
	s_and_b32 s13, s1, s0
	s_lshl_b64 s[0:1], s[10:11], 1
	s_branch .LBB46_4
.LBB46_2:                               ;   in Loop: Header=BB46_4 Depth=1
	s_wait_xcnt 0x0
	s_or_b32 exec_lo, exec_lo, s11
.LBB46_3:                               ;   in Loop: Header=BB46_4 Depth=1
	s_add_co_i32 s2, s2, 0x10000
	s_delay_alu instid0(SALU_CYCLE_1)
	s_cmp_lt_u32 s2, s12
	s_cbranch_scc0 .LBB46_9
.LBB46_4:                               ; =>This Inner Loop Header: Depth=1
	s_wait_xcnt 0x0
	s_mul_u64 s[10:11], s[6:7], s[2:3]
	s_delay_alu instid0(SALU_CYCLE_1) | instskip(NEXT) | instid1(SALU_CYCLE_1)
	s_lshl_b64 s[10:11], s[10:11], 2
	s_add_nc_u64 s[10:11], s[4:5], s[10:11]
	s_load_b32 s10, s[10:11], 0x0
	s_wait_kmcnt 0x0
	s_cmp_eq_f32 s10, 1.0
	s_cbranch_scc1 .LBB46_3
; %bb.5:                                ;   in Loop: Header=BB46_4 Depth=1
	s_lshl_b64 s[14:15], s[2:3], 3
	s_delay_alu instid0(SALU_CYCLE_1) | instskip(SKIP_4) | instid1(SALU_CYCLE_1)
	s_add_nc_u64 s[14:15], s[8:9], s[14:15]
	s_load_b64 s[14:15], s[14:15], 0x0
	s_wait_kmcnt 0x0
	s_wait_xcnt 0x0
	s_add_nc_u64 s[14:15], s[14:15], s[0:1]
	v_lshl_add_u64 v[2:3], v[0:1], 1, s[14:15]
	s_and_saveexec_b32 s11, vcc_lo
	s_cbranch_execz .LBB46_7
; %bb.6:                                ;   in Loop: Header=BB46_4 Depth=1
	flat_load_b32 v4, v[2:3]
	s_wait_loadcnt_dscnt 0x0
	v_lshrrev_b32_e32 v5, 16, v4
	v_cvt_f32_f16_e32 v4, v4
	s_delay_alu instid0(VALU_DEP_2) | instskip(NEXT) | instid1(VALU_DEP_1)
	v_cvt_f32_f16_e32 v5, v5
	v_pk_mul_f32 v[4:5], s[10:11], v[4:5] op_sel_hi:[0,1]
	s_delay_alu instid0(VALU_DEP_1)
	v_cvt_pk_f16_f32 v4, v4, v5
	flat_store_b32 v[2:3], v4
.LBB46_7:                               ;   in Loop: Header=BB46_4 Depth=1
	s_wait_xcnt 0x0
	s_or_b32 exec_lo, exec_lo, s11
	s_and_saveexec_b32 s11, s13
	s_cbranch_execz .LBB46_2
; %bb.8:                                ;   in Loop: Header=BB46_4 Depth=1
	flat_load_u16 v4, v[2:3]
	s_wait_loadcnt_dscnt 0x0
	v_fma_mixlo_f16 v4, s10, v4, 0 op_sel_hi:[0,1,0]
	flat_store_b16 v[2:3], v4
	s_branch .LBB46_2
.LBB46_9:
	s_endpgm
	.section	.rodata,"a",@progbits
	.p2align	6, 0x0
	.amdhsa_kernel _ZL22rocblas_sscal_2_kernelILi256EDF16_DF16_PKfPKPDF16_EviT2_lT3_lli
		.amdhsa_group_segment_fixed_size 0
		.amdhsa_private_segment_fixed_size 0
		.amdhsa_kernarg_size 52
		.amdhsa_user_sgpr_count 2
		.amdhsa_user_sgpr_dispatch_ptr 0
		.amdhsa_user_sgpr_queue_ptr 0
		.amdhsa_user_sgpr_kernarg_segment_ptr 1
		.amdhsa_user_sgpr_dispatch_id 0
		.amdhsa_user_sgpr_kernarg_preload_length 0
		.amdhsa_user_sgpr_kernarg_preload_offset 0
		.amdhsa_user_sgpr_private_segment_size 0
		.amdhsa_wavefront_size32 1
		.amdhsa_uses_dynamic_stack 0
		.amdhsa_enable_private_segment 0
		.amdhsa_system_sgpr_workgroup_id_x 1
		.amdhsa_system_sgpr_workgroup_id_y 0
		.amdhsa_system_sgpr_workgroup_id_z 1
		.amdhsa_system_sgpr_workgroup_info 0
		.amdhsa_system_vgpr_workitem_id 0
		.amdhsa_next_free_vgpr 6
		.amdhsa_next_free_sgpr 16
		.amdhsa_named_barrier_count 0
		.amdhsa_reserve_vcc 1
		.amdhsa_float_round_mode_32 0
		.amdhsa_float_round_mode_16_64 0
		.amdhsa_float_denorm_mode_32 3
		.amdhsa_float_denorm_mode_16_64 3
		.amdhsa_fp16_overflow 0
		.amdhsa_memory_ordered 1
		.amdhsa_forward_progress 1
		.amdhsa_inst_pref_size 4
		.amdhsa_round_robin_scheduling 0
		.amdhsa_exception_fp_ieee_invalid_op 0
		.amdhsa_exception_fp_denorm_src 0
		.amdhsa_exception_fp_ieee_div_zero 0
		.amdhsa_exception_fp_ieee_overflow 0
		.amdhsa_exception_fp_ieee_underflow 0
		.amdhsa_exception_fp_ieee_inexact 0
		.amdhsa_exception_int_div_zero 0
	.end_amdhsa_kernel
	.section	.text._ZL22rocblas_sscal_2_kernelILi256EDF16_DF16_PKfPKPDF16_EviT2_lT3_lli,"axG",@progbits,_ZL22rocblas_sscal_2_kernelILi256EDF16_DF16_PKfPKPDF16_EviT2_lT3_lli,comdat
.Lfunc_end46:
	.size	_ZL22rocblas_sscal_2_kernelILi256EDF16_DF16_PKfPKPDF16_EviT2_lT3_lli, .Lfunc_end46-_ZL22rocblas_sscal_2_kernelILi256EDF16_DF16_PKfPKPDF16_EviT2_lT3_lli
                                        ; -- End function
	.set _ZL22rocblas_sscal_2_kernelILi256EDF16_DF16_PKfPKPDF16_EviT2_lT3_lli.num_vgpr, 6
	.set _ZL22rocblas_sscal_2_kernelILi256EDF16_DF16_PKfPKPDF16_EviT2_lT3_lli.num_agpr, 0
	.set _ZL22rocblas_sscal_2_kernelILi256EDF16_DF16_PKfPKPDF16_EviT2_lT3_lli.numbered_sgpr, 16
	.set _ZL22rocblas_sscal_2_kernelILi256EDF16_DF16_PKfPKPDF16_EviT2_lT3_lli.num_named_barrier, 0
	.set _ZL22rocblas_sscal_2_kernelILi256EDF16_DF16_PKfPKPDF16_EviT2_lT3_lli.private_seg_size, 0
	.set _ZL22rocblas_sscal_2_kernelILi256EDF16_DF16_PKfPKPDF16_EviT2_lT3_lli.uses_vcc, 1
	.set _ZL22rocblas_sscal_2_kernelILi256EDF16_DF16_PKfPKPDF16_EviT2_lT3_lli.uses_flat_scratch, 0
	.set _ZL22rocblas_sscal_2_kernelILi256EDF16_DF16_PKfPKPDF16_EviT2_lT3_lli.has_dyn_sized_stack, 0
	.set _ZL22rocblas_sscal_2_kernelILi256EDF16_DF16_PKfPKPDF16_EviT2_lT3_lli.has_recursion, 0
	.set _ZL22rocblas_sscal_2_kernelILi256EDF16_DF16_PKfPKPDF16_EviT2_lT3_lli.has_indirect_call, 0
	.section	.AMDGPU.csdata,"",@progbits
; Kernel info:
; codeLenInByte = 428
; TotalNumSgprs: 18
; NumVgprs: 6
; ScratchSize: 0
; MemoryBound: 0
; FloatMode: 240
; IeeeMode: 1
; LDSByteSize: 0 bytes/workgroup (compile time only)
; SGPRBlocks: 0
; VGPRBlocks: 0
; NumSGPRsForWavesPerEU: 18
; NumVGPRsForWavesPerEU: 6
; NamedBarCnt: 0
; Occupancy: 16
; WaveLimiterHint : 1
; COMPUTE_PGM_RSRC2:SCRATCH_EN: 0
; COMPUTE_PGM_RSRC2:USER_SGPR: 2
; COMPUTE_PGM_RSRC2:TRAP_HANDLER: 0
; COMPUTE_PGM_RSRC2:TGID_X_EN: 1
; COMPUTE_PGM_RSRC2:TGID_Y_EN: 0
; COMPUTE_PGM_RSRC2:TGID_Z_EN: 1
; COMPUTE_PGM_RSRC2:TIDIG_COMP_CNT: 0
	.section	.text._ZL22rocblas_sscal_2_kernelILi256EDF16_DF16_fPKPDF16_EviT2_lT3_lli,"axG",@progbits,_ZL22rocblas_sscal_2_kernelILi256EDF16_DF16_fPKPDF16_EviT2_lT3_lli,comdat
	.globl	_ZL22rocblas_sscal_2_kernelILi256EDF16_DF16_fPKPDF16_EviT2_lT3_lli ; -- Begin function _ZL22rocblas_sscal_2_kernelILi256EDF16_DF16_fPKPDF16_EviT2_lT3_lli
	.p2align	8
	.type	_ZL22rocblas_sscal_2_kernelILi256EDF16_DF16_fPKPDF16_EviT2_lT3_lli,@function
_ZL22rocblas_sscal_2_kernelILi256EDF16_DF16_fPKPDF16_EviT2_lT3_lli: ; @_ZL22rocblas_sscal_2_kernelILi256EDF16_DF16_fPKPDF16_EviT2_lT3_lli
; %bb.0:
	s_load_b32 s8, s[0:1], 0x28
	s_bfe_u32 s2, ttmp6, 0x40014
	s_lshr_b32 s3, ttmp7, 16
	s_add_co_i32 s2, s2, 1
	s_bfe_u32 s4, ttmp6, 0x40008
	s_mul_i32 s2, s3, s2
	s_getreg_b32 s10, hwreg(HW_REG_IB_STS2, 6, 4)
	s_add_co_i32 s4, s4, s2
	s_cmp_eq_u32 s10, 0
	s_cselect_b32 s9, s3, s4
	s_wait_kmcnt 0x0
	s_cmp_ge_u32 s9, s8
	s_cbranch_scc1 .LBB47_9
; %bb.1:
	s_clause 0x1
	s_load_b64 s[2:3], s[0:1], 0x0
	s_load_b128 s[4:7], s[0:1], 0x10
	s_bfe_u32 s11, ttmp6, 0x4000c
	s_wait_xcnt 0x0
	s_and_b32 s0, ttmp6, 15
	s_add_co_i32 s11, s11, 1
	v_dual_mov_b32 v1, 0 :: v_dual_lshlrev_b32 v0, 1, v0
	s_mul_i32 s1, ttmp9, s11
	s_delay_alu instid0(SALU_CYCLE_1) | instskip(SKIP_2) | instid1(SALU_CYCLE_1)
	s_add_co_i32 s0, s0, s1
	s_cmp_eq_u32 s10, 0
	s_cselect_b32 s0, ttmp9, s0
	v_lshl_or_b32 v0, s0, 9, v0
	s_delay_alu instid0(VALU_DEP_1)
	v_or_b32_e32 v2, 1, v0
	s_wait_kmcnt 0x0
	s_cmp_neq_f32 s3, 1.0
	s_cselect_b32 s1, -1, 0
	s_bitcmp1_b32 s2, 0
	s_cselect_b32 s10, -1, 0
	s_add_co_i32 s0, s2, -1
	s_lshl_b64 s[6:7], s[6:7], 1
	v_cmp_eq_u32_e32 vcc_lo, s0, v0
	v_cmp_gt_u32_e64 s0, s2, v2
	s_mov_b32 s2, s3
	s_and_b32 s10, s10, vcc_lo
	s_branch .LBB47_4
.LBB47_2:                               ;   in Loop: Header=BB47_4 Depth=1
	s_wait_xcnt 0x0
	s_or_b32 exec_lo, exec_lo, s11
.LBB47_3:                               ;   in Loop: Header=BB47_4 Depth=1
	s_add_co_i32 s9, s9, 0x10000
	s_delay_alu instid0(SALU_CYCLE_1)
	s_cmp_lt_u32 s9, s8
	s_cbranch_scc0 .LBB47_9
.LBB47_4:                               ; =>This Inner Loop Header: Depth=1
	s_and_not1_b32 vcc_lo, exec_lo, s1
	s_cbranch_vccnz .LBB47_3
; %bb.5:                                ;   in Loop: Header=BB47_4 Depth=1
	s_load_b64 s[12:13], s[4:5], s9 offset:0x0 scale_offset
	s_wait_kmcnt 0x0
	s_add_nc_u64 s[12:13], s[12:13], s[6:7]
	s_delay_alu instid0(SALU_CYCLE_1)
	v_lshl_add_u64 v[2:3], v[0:1], 1, s[12:13]
	s_and_saveexec_b32 s11, s0
	s_cbranch_execz .LBB47_7
; %bb.6:                                ;   in Loop: Header=BB47_4 Depth=1
	flat_load_b32 v4, v[2:3]
	v_mov_b64_e32 v[6:7], s[2:3]
	s_wait_loadcnt_dscnt 0x0
	v_lshrrev_b32_e32 v5, 16, v4
	v_cvt_f32_f16_e32 v4, v4
	s_delay_alu instid0(VALU_DEP_2) | instskip(NEXT) | instid1(VALU_DEP_1)
	v_cvt_f32_f16_e32 v5, v5
	v_pk_mul_f32 v[4:5], v[6:7], v[4:5]
	s_delay_alu instid0(VALU_DEP_1)
	v_cvt_pk_f16_f32 v4, v4, v5
	flat_store_b32 v[2:3], v4
.LBB47_7:                               ;   in Loop: Header=BB47_4 Depth=1
	s_wait_xcnt 0x0
	s_or_b32 exec_lo, exec_lo, s11
	s_and_saveexec_b32 s11, s10
	s_cbranch_execz .LBB47_2
; %bb.8:                                ;   in Loop: Header=BB47_4 Depth=1
	flat_load_u16 v4, v[2:3]
	s_wait_loadcnt_dscnt 0x0
	v_fma_mixlo_f16 v4, s3, v4, 0 op_sel_hi:[0,1,0]
	flat_store_b16 v[2:3], v4
	s_branch .LBB47_2
.LBB47_9:
	s_endpgm
	.section	.rodata,"a",@progbits
	.p2align	6, 0x0
	.amdhsa_kernel _ZL22rocblas_sscal_2_kernelILi256EDF16_DF16_fPKPDF16_EviT2_lT3_lli
		.amdhsa_group_segment_fixed_size 0
		.amdhsa_private_segment_fixed_size 0
		.amdhsa_kernarg_size 44
		.amdhsa_user_sgpr_count 2
		.amdhsa_user_sgpr_dispatch_ptr 0
		.amdhsa_user_sgpr_queue_ptr 0
		.amdhsa_user_sgpr_kernarg_segment_ptr 1
		.amdhsa_user_sgpr_dispatch_id 0
		.amdhsa_user_sgpr_kernarg_preload_length 0
		.amdhsa_user_sgpr_kernarg_preload_offset 0
		.amdhsa_user_sgpr_private_segment_size 0
		.amdhsa_wavefront_size32 1
		.amdhsa_uses_dynamic_stack 0
		.amdhsa_enable_private_segment 0
		.amdhsa_system_sgpr_workgroup_id_x 1
		.amdhsa_system_sgpr_workgroup_id_y 0
		.amdhsa_system_sgpr_workgroup_id_z 1
		.amdhsa_system_sgpr_workgroup_info 0
		.amdhsa_system_vgpr_workitem_id 0
		.amdhsa_next_free_vgpr 8
		.amdhsa_next_free_sgpr 14
		.amdhsa_named_barrier_count 0
		.amdhsa_reserve_vcc 1
		.amdhsa_float_round_mode_32 0
		.amdhsa_float_round_mode_16_64 0
		.amdhsa_float_denorm_mode_32 3
		.amdhsa_float_denorm_mode_16_64 3
		.amdhsa_fp16_overflow 0
		.amdhsa_memory_ordered 1
		.amdhsa_forward_progress 1
		.amdhsa_inst_pref_size 4
		.amdhsa_round_robin_scheduling 0
		.amdhsa_exception_fp_ieee_invalid_op 0
		.amdhsa_exception_fp_denorm_src 0
		.amdhsa_exception_fp_ieee_div_zero 0
		.amdhsa_exception_fp_ieee_overflow 0
		.amdhsa_exception_fp_ieee_underflow 0
		.amdhsa_exception_fp_ieee_inexact 0
		.amdhsa_exception_int_div_zero 0
	.end_amdhsa_kernel
	.section	.text._ZL22rocblas_sscal_2_kernelILi256EDF16_DF16_fPKPDF16_EviT2_lT3_lli,"axG",@progbits,_ZL22rocblas_sscal_2_kernelILi256EDF16_DF16_fPKPDF16_EviT2_lT3_lli,comdat
.Lfunc_end47:
	.size	_ZL22rocblas_sscal_2_kernelILi256EDF16_DF16_fPKPDF16_EviT2_lT3_lli, .Lfunc_end47-_ZL22rocblas_sscal_2_kernelILi256EDF16_DF16_fPKPDF16_EviT2_lT3_lli
                                        ; -- End function
	.set _ZL22rocblas_sscal_2_kernelILi256EDF16_DF16_fPKPDF16_EviT2_lT3_lli.num_vgpr, 8
	.set _ZL22rocblas_sscal_2_kernelILi256EDF16_DF16_fPKPDF16_EviT2_lT3_lli.num_agpr, 0
	.set _ZL22rocblas_sscal_2_kernelILi256EDF16_DF16_fPKPDF16_EviT2_lT3_lli.numbered_sgpr, 14
	.set _ZL22rocblas_sscal_2_kernelILi256EDF16_DF16_fPKPDF16_EviT2_lT3_lli.num_named_barrier, 0
	.set _ZL22rocblas_sscal_2_kernelILi256EDF16_DF16_fPKPDF16_EviT2_lT3_lli.private_seg_size, 0
	.set _ZL22rocblas_sscal_2_kernelILi256EDF16_DF16_fPKPDF16_EviT2_lT3_lli.uses_vcc, 1
	.set _ZL22rocblas_sscal_2_kernelILi256EDF16_DF16_fPKPDF16_EviT2_lT3_lli.uses_flat_scratch, 0
	.set _ZL22rocblas_sscal_2_kernelILi256EDF16_DF16_fPKPDF16_EviT2_lT3_lli.has_dyn_sized_stack, 0
	.set _ZL22rocblas_sscal_2_kernelILi256EDF16_DF16_fPKPDF16_EviT2_lT3_lli.has_recursion, 0
	.set _ZL22rocblas_sscal_2_kernelILi256EDF16_DF16_fPKPDF16_EviT2_lT3_lli.has_indirect_call, 0
	.section	.AMDGPU.csdata,"",@progbits
; Kernel info:
; codeLenInByte = 400
; TotalNumSgprs: 16
; NumVgprs: 8
; ScratchSize: 0
; MemoryBound: 0
; FloatMode: 240
; IeeeMode: 1
; LDSByteSize: 0 bytes/workgroup (compile time only)
; SGPRBlocks: 0
; VGPRBlocks: 0
; NumSGPRsForWavesPerEU: 16
; NumVGPRsForWavesPerEU: 8
; NamedBarCnt: 0
; Occupancy: 16
; WaveLimiterHint : 1
; COMPUTE_PGM_RSRC2:SCRATCH_EN: 0
; COMPUTE_PGM_RSRC2:USER_SGPR: 2
; COMPUTE_PGM_RSRC2:TRAP_HANDLER: 0
; COMPUTE_PGM_RSRC2:TGID_X_EN: 1
; COMPUTE_PGM_RSRC2:TGID_Y_EN: 0
; COMPUTE_PGM_RSRC2:TGID_Z_EN: 1
; COMPUTE_PGM_RSRC2:TIDIG_COMP_CNT: 0
	.section	.text._ZL19rocblas_scal_kernelIiLi256EDF16_DF16_PKfPKPDF16_EviT3_lT4_lT_li,"axG",@progbits,_ZL19rocblas_scal_kernelIiLi256EDF16_DF16_PKfPKPDF16_EviT3_lT4_lT_li,comdat
	.globl	_ZL19rocblas_scal_kernelIiLi256EDF16_DF16_PKfPKPDF16_EviT3_lT4_lT_li ; -- Begin function _ZL19rocblas_scal_kernelIiLi256EDF16_DF16_PKfPKPDF16_EviT3_lT4_lT_li
	.p2align	8
	.type	_ZL19rocblas_scal_kernelIiLi256EDF16_DF16_PKfPKPDF16_EviT3_lT4_lT_li,@function
_ZL19rocblas_scal_kernelIiLi256EDF16_DF16_PKfPKPDF16_EviT3_lT4_lT_li: ; @_ZL19rocblas_scal_kernelIiLi256EDF16_DF16_PKfPKPDF16_EviT3_lT4_lT_li
; %bb.0:
	s_load_b32 s12, s[0:1], 0x38
	s_bfe_u32 s2, ttmp6, 0x40014
	s_lshr_b32 s3, ttmp7, 16
	s_add_co_i32 s2, s2, 1
	s_bfe_u32 s5, ttmp6, 0x40008
	s_mul_i32 s2, s3, s2
	s_getreg_b32 s4, hwreg(HW_REG_IB_STS2, 6, 4)
	s_add_co_i32 s5, s5, s2
	s_cmp_eq_u32 s4, 0
	s_cselect_b32 s2, s3, s5
	s_mov_b32 s3, 0
	s_wait_kmcnt 0x0
	s_cmp_ge_u32 s2, s12
	s_cbranch_scc1 .LBB48_5
; %bb.1:
	s_load_b32 s6, s[0:1], 0x28
	s_bfe_u32 s5, ttmp6, 0x4000c
	s_and_b32 s7, ttmp6, 15
	s_add_co_i32 s5, s5, 1
	v_mov_b32_e32 v3, 0
	s_mul_i32 s5, ttmp9, s5
	s_delay_alu instid0(SALU_CYCLE_1) | instskip(SKIP_4) | instid1(SALU_CYCLE_1)
	s_add_co_i32 s5, s7, s5
	s_wait_kmcnt 0x0
	s_ashr_i32 s7, s6, 31
	s_cmp_eq_u32 s4, 0
	s_cselect_b32 s4, ttmp9, s5
	v_lshl_or_b32 v2, s4, 8, v0
	s_delay_alu instid0(VALU_DEP_1)
	v_mul_u64_e32 v[0:1], s[6:7], v[2:3]
	s_clause 0x1
	s_load_b32 s13, s[0:1], 0x0
	s_load_b256 s[4:11], s[0:1], 0x8
	s_wait_kmcnt 0x0
	v_cmp_gt_u32_e32 vcc_lo, s13, v2
	s_lshl_b64 s[0:1], s[10:11], 1
	s_branch .LBB48_3
.LBB48_2:                               ;   in Loop: Header=BB48_3 Depth=1
	s_wait_xcnt 0x0
	s_or_b32 exec_lo, exec_lo, s11
	s_add_co_i32 s2, s2, 0x10000
	s_delay_alu instid0(SALU_CYCLE_1)
	s_cmp_lt_u32 s2, s12
	s_cbranch_scc0 .LBB48_5
.LBB48_3:                               ; =>This Inner Loop Header: Depth=1
	s_mul_u64 s[10:11], s[6:7], s[2:3]
	s_delay_alu instid0(SALU_CYCLE_1) | instskip(NEXT) | instid1(SALU_CYCLE_1)
	s_lshl_b64 s[10:11], s[10:11], 2
	s_add_nc_u64 s[10:11], s[4:5], s[10:11]
	s_load_b32 s10, s[10:11], 0x0
	s_wait_kmcnt 0x0
	s_cmp_neq_f32 s10, 1.0
	s_wait_xcnt 0x0
	s_cselect_b32 s11, -1, 0
	s_delay_alu instid0(SALU_CYCLE_1) | instskip(NEXT) | instid1(SALU_CYCLE_1)
	s_and_b32 s13, vcc_lo, s11
	s_and_saveexec_b32 s11, s13
	s_cbranch_execz .LBB48_2
; %bb.4:                                ;   in Loop: Header=BB48_3 Depth=1
	s_lshl_b64 s[14:15], s[2:3], 3
	s_delay_alu instid0(SALU_CYCLE_1)
	s_add_nc_u64 s[14:15], s[8:9], s[14:15]
	s_load_b64 s[14:15], s[14:15], 0x0
	s_wait_kmcnt 0x0
	s_wait_xcnt 0x0
	s_add_nc_u64 s[14:15], s[14:15], s[0:1]
	s_delay_alu instid0(VALU_DEP_2) | instid1(SALU_CYCLE_1)
	v_lshl_add_u64 v[2:3], v[0:1], 1, s[14:15]
	flat_load_u16 v4, v[2:3]
	s_wait_loadcnt_dscnt 0x0
	v_fma_mixlo_f16 v4, s10, v4, 0 op_sel_hi:[0,1,0]
	flat_store_b16 v[2:3], v4
	s_branch .LBB48_2
.LBB48_5:
	s_endpgm
	.section	.rodata,"a",@progbits
	.p2align	6, 0x0
	.amdhsa_kernel _ZL19rocblas_scal_kernelIiLi256EDF16_DF16_PKfPKPDF16_EviT3_lT4_lT_li
		.amdhsa_group_segment_fixed_size 0
		.amdhsa_private_segment_fixed_size 0
		.amdhsa_kernarg_size 60
		.amdhsa_user_sgpr_count 2
		.amdhsa_user_sgpr_dispatch_ptr 0
		.amdhsa_user_sgpr_queue_ptr 0
		.amdhsa_user_sgpr_kernarg_segment_ptr 1
		.amdhsa_user_sgpr_dispatch_id 0
		.amdhsa_user_sgpr_kernarg_preload_length 0
		.amdhsa_user_sgpr_kernarg_preload_offset 0
		.amdhsa_user_sgpr_private_segment_size 0
		.amdhsa_wavefront_size32 1
		.amdhsa_uses_dynamic_stack 0
		.amdhsa_enable_private_segment 0
		.amdhsa_system_sgpr_workgroup_id_x 1
		.amdhsa_system_sgpr_workgroup_id_y 0
		.amdhsa_system_sgpr_workgroup_id_z 1
		.amdhsa_system_sgpr_workgroup_info 0
		.amdhsa_system_vgpr_workitem_id 0
		.amdhsa_next_free_vgpr 5
		.amdhsa_next_free_sgpr 16
		.amdhsa_named_barrier_count 0
		.amdhsa_reserve_vcc 1
		.amdhsa_float_round_mode_32 0
		.amdhsa_float_round_mode_16_64 0
		.amdhsa_float_denorm_mode_32 3
		.amdhsa_float_denorm_mode_16_64 3
		.amdhsa_fp16_overflow 0
		.amdhsa_memory_ordered 1
		.amdhsa_forward_progress 1
		.amdhsa_inst_pref_size 3
		.amdhsa_round_robin_scheduling 0
		.amdhsa_exception_fp_ieee_invalid_op 0
		.amdhsa_exception_fp_denorm_src 0
		.amdhsa_exception_fp_ieee_div_zero 0
		.amdhsa_exception_fp_ieee_overflow 0
		.amdhsa_exception_fp_ieee_underflow 0
		.amdhsa_exception_fp_ieee_inexact 0
		.amdhsa_exception_int_div_zero 0
	.end_amdhsa_kernel
	.section	.text._ZL19rocblas_scal_kernelIiLi256EDF16_DF16_PKfPKPDF16_EviT3_lT4_lT_li,"axG",@progbits,_ZL19rocblas_scal_kernelIiLi256EDF16_DF16_PKfPKPDF16_EviT3_lT4_lT_li,comdat
.Lfunc_end48:
	.size	_ZL19rocblas_scal_kernelIiLi256EDF16_DF16_PKfPKPDF16_EviT3_lT4_lT_li, .Lfunc_end48-_ZL19rocblas_scal_kernelIiLi256EDF16_DF16_PKfPKPDF16_EviT3_lT4_lT_li
                                        ; -- End function
	.set _ZL19rocblas_scal_kernelIiLi256EDF16_DF16_PKfPKPDF16_EviT3_lT4_lT_li.num_vgpr, 5
	.set _ZL19rocblas_scal_kernelIiLi256EDF16_DF16_PKfPKPDF16_EviT3_lT4_lT_li.num_agpr, 0
	.set _ZL19rocblas_scal_kernelIiLi256EDF16_DF16_PKfPKPDF16_EviT3_lT4_lT_li.numbered_sgpr, 16
	.set _ZL19rocblas_scal_kernelIiLi256EDF16_DF16_PKfPKPDF16_EviT3_lT4_lT_li.num_named_barrier, 0
	.set _ZL19rocblas_scal_kernelIiLi256EDF16_DF16_PKfPKPDF16_EviT3_lT4_lT_li.private_seg_size, 0
	.set _ZL19rocblas_scal_kernelIiLi256EDF16_DF16_PKfPKPDF16_EviT3_lT4_lT_li.uses_vcc, 1
	.set _ZL19rocblas_scal_kernelIiLi256EDF16_DF16_PKfPKPDF16_EviT3_lT4_lT_li.uses_flat_scratch, 0
	.set _ZL19rocblas_scal_kernelIiLi256EDF16_DF16_PKfPKPDF16_EviT3_lT4_lT_li.has_dyn_sized_stack, 0
	.set _ZL19rocblas_scal_kernelIiLi256EDF16_DF16_PKfPKPDF16_EviT3_lT4_lT_li.has_recursion, 0
	.set _ZL19rocblas_scal_kernelIiLi256EDF16_DF16_PKfPKPDF16_EviT3_lT4_lT_li.has_indirect_call, 0
	.section	.AMDGPU.csdata,"",@progbits
; Kernel info:
; codeLenInByte = 348
; TotalNumSgprs: 18
; NumVgprs: 5
; ScratchSize: 0
; MemoryBound: 0
; FloatMode: 240
; IeeeMode: 1
; LDSByteSize: 0 bytes/workgroup (compile time only)
; SGPRBlocks: 0
; VGPRBlocks: 0
; NumSGPRsForWavesPerEU: 18
; NumVGPRsForWavesPerEU: 5
; NamedBarCnt: 0
; Occupancy: 16
; WaveLimiterHint : 1
; COMPUTE_PGM_RSRC2:SCRATCH_EN: 0
; COMPUTE_PGM_RSRC2:USER_SGPR: 2
; COMPUTE_PGM_RSRC2:TRAP_HANDLER: 0
; COMPUTE_PGM_RSRC2:TGID_X_EN: 1
; COMPUTE_PGM_RSRC2:TGID_Y_EN: 0
; COMPUTE_PGM_RSRC2:TGID_Z_EN: 1
; COMPUTE_PGM_RSRC2:TIDIG_COMP_CNT: 0
	.section	.text._ZL19rocblas_scal_kernelIiLi256EDF16_DF16_fPKPDF16_EviT3_lT4_lT_li,"axG",@progbits,_ZL19rocblas_scal_kernelIiLi256EDF16_DF16_fPKPDF16_EviT3_lT4_lT_li,comdat
	.globl	_ZL19rocblas_scal_kernelIiLi256EDF16_DF16_fPKPDF16_EviT3_lT4_lT_li ; -- Begin function _ZL19rocblas_scal_kernelIiLi256EDF16_DF16_fPKPDF16_EviT3_lT4_lT_li
	.p2align	8
	.type	_ZL19rocblas_scal_kernelIiLi256EDF16_DF16_fPKPDF16_EviT3_lT4_lT_li,@function
_ZL19rocblas_scal_kernelIiLi256EDF16_DF16_fPKPDF16_EviT3_lT4_lT_li: ; @_ZL19rocblas_scal_kernelIiLi256EDF16_DF16_fPKPDF16_EviT3_lT4_lT_li
; %bb.0:
	s_load_b32 s8, s[0:1], 0x30
	s_bfe_u32 s2, ttmp6, 0x40014
	s_lshr_b32 s3, ttmp7, 16
	s_add_co_i32 s2, s2, 1
	s_bfe_u32 s5, ttmp6, 0x40008
	s_mul_i32 s4, s3, s2
	s_getreg_b32 s2, hwreg(HW_REG_IB_STS2, 6, 4)
	s_add_co_i32 s5, s5, s4
	s_cmp_eq_u32 s2, 0
	s_cselect_b32 s9, s3, s5
	s_wait_kmcnt 0x0
	s_cmp_ge_u32 s9, s8
	s_cbranch_scc1 .LBB49_5
; %bb.1:
	s_load_b32 s4, s[0:1], 0x20
	s_bfe_u32 s3, ttmp6, 0x4000c
	s_and_b32 s5, ttmp6, 15
	s_add_co_i32 s3, s3, 1
	v_mov_b32_e32 v3, 0
	s_mul_i32 s3, ttmp9, s3
	s_delay_alu instid0(SALU_CYCLE_1) | instskip(SKIP_4) | instid1(SALU_CYCLE_1)
	s_add_co_i32 s3, s5, s3
	s_wait_kmcnt 0x0
	s_ashr_i32 s5, s4, 31
	s_cmp_eq_u32 s2, 0
	s_cselect_b32 s2, ttmp9, s3
	v_lshl_or_b32 v2, s2, 8, v0
	s_delay_alu instid0(VALU_DEP_1)
	v_mul_u64_e32 v[0:1], s[4:5], v[2:3]
	s_clause 0x1
	s_load_b64 s[2:3], s[0:1], 0x0
	s_load_b128 s[4:7], s[0:1], 0x10
	s_wait_kmcnt 0x0
	s_cmp_neq_f32 s3, 1.0
	v_cmp_gt_u32_e32 vcc_lo, s2, v2
	s_cselect_b32 s0, -1, 0
	s_delay_alu instid0(SALU_CYCLE_1)
	s_and_b32 s2, vcc_lo, s0
	s_lshl_b64 s[0:1], s[6:7], 1
	s_branch .LBB49_3
.LBB49_2:                               ;   in Loop: Header=BB49_3 Depth=1
	s_wait_xcnt 0x0
	s_or_b32 exec_lo, exec_lo, s6
	s_add_co_i32 s9, s9, 0x10000
	s_delay_alu instid0(SALU_CYCLE_1)
	s_cmp_lt_u32 s9, s8
	s_cbranch_scc0 .LBB49_5
.LBB49_3:                               ; =>This Inner Loop Header: Depth=1
	s_and_saveexec_b32 s6, s2
	s_cbranch_execz .LBB49_2
; %bb.4:                                ;   in Loop: Header=BB49_3 Depth=1
	s_load_b64 s[10:11], s[4:5], s9 offset:0x0 scale_offset
	s_wait_kmcnt 0x0
	s_add_nc_u64 s[10:11], s[10:11], s[0:1]
	s_delay_alu instid0(VALU_DEP_2) | instid1(SALU_CYCLE_1)
	v_lshl_add_u64 v[2:3], v[0:1], 1, s[10:11]
	flat_load_u16 v4, v[2:3]
	s_wait_loadcnt_dscnt 0x0
	v_fma_mixlo_f16 v4, s3, v4, 0 op_sel_hi:[0,1,0]
	flat_store_b16 v[2:3], v4
	s_branch .LBB49_2
.LBB49_5:
	s_endpgm
	.section	.rodata,"a",@progbits
	.p2align	6, 0x0
	.amdhsa_kernel _ZL19rocblas_scal_kernelIiLi256EDF16_DF16_fPKPDF16_EviT3_lT4_lT_li
		.amdhsa_group_segment_fixed_size 0
		.amdhsa_private_segment_fixed_size 0
		.amdhsa_kernarg_size 52
		.amdhsa_user_sgpr_count 2
		.amdhsa_user_sgpr_dispatch_ptr 0
		.amdhsa_user_sgpr_queue_ptr 0
		.amdhsa_user_sgpr_kernarg_segment_ptr 1
		.amdhsa_user_sgpr_dispatch_id 0
		.amdhsa_user_sgpr_kernarg_preload_length 0
		.amdhsa_user_sgpr_kernarg_preload_offset 0
		.amdhsa_user_sgpr_private_segment_size 0
		.amdhsa_wavefront_size32 1
		.amdhsa_uses_dynamic_stack 0
		.amdhsa_enable_private_segment 0
		.amdhsa_system_sgpr_workgroup_id_x 1
		.amdhsa_system_sgpr_workgroup_id_y 0
		.amdhsa_system_sgpr_workgroup_id_z 1
		.amdhsa_system_sgpr_workgroup_info 0
		.amdhsa_system_vgpr_workitem_id 0
		.amdhsa_next_free_vgpr 5
		.amdhsa_next_free_sgpr 12
		.amdhsa_named_barrier_count 0
		.amdhsa_reserve_vcc 1
		.amdhsa_float_round_mode_32 0
		.amdhsa_float_round_mode_16_64 0
		.amdhsa_float_denorm_mode_32 3
		.amdhsa_float_denorm_mode_16_64 3
		.amdhsa_fp16_overflow 0
		.amdhsa_memory_ordered 1
		.amdhsa_forward_progress 1
		.amdhsa_inst_pref_size 3
		.amdhsa_round_robin_scheduling 0
		.amdhsa_exception_fp_ieee_invalid_op 0
		.amdhsa_exception_fp_denorm_src 0
		.amdhsa_exception_fp_ieee_div_zero 0
		.amdhsa_exception_fp_ieee_overflow 0
		.amdhsa_exception_fp_ieee_underflow 0
		.amdhsa_exception_fp_ieee_inexact 0
		.amdhsa_exception_int_div_zero 0
	.end_amdhsa_kernel
	.section	.text._ZL19rocblas_scal_kernelIiLi256EDF16_DF16_fPKPDF16_EviT3_lT4_lT_li,"axG",@progbits,_ZL19rocblas_scal_kernelIiLi256EDF16_DF16_fPKPDF16_EviT3_lT4_lT_li,comdat
.Lfunc_end49:
	.size	_ZL19rocblas_scal_kernelIiLi256EDF16_DF16_fPKPDF16_EviT3_lT4_lT_li, .Lfunc_end49-_ZL19rocblas_scal_kernelIiLi256EDF16_DF16_fPKPDF16_EviT3_lT4_lT_li
                                        ; -- End function
	.set _ZL19rocblas_scal_kernelIiLi256EDF16_DF16_fPKPDF16_EviT3_lT4_lT_li.num_vgpr, 5
	.set _ZL19rocblas_scal_kernelIiLi256EDF16_DF16_fPKPDF16_EviT3_lT4_lT_li.num_agpr, 0
	.set _ZL19rocblas_scal_kernelIiLi256EDF16_DF16_fPKPDF16_EviT3_lT4_lT_li.numbered_sgpr, 12
	.set _ZL19rocblas_scal_kernelIiLi256EDF16_DF16_fPKPDF16_EviT3_lT4_lT_li.num_named_barrier, 0
	.set _ZL19rocblas_scal_kernelIiLi256EDF16_DF16_fPKPDF16_EviT3_lT4_lT_li.private_seg_size, 0
	.set _ZL19rocblas_scal_kernelIiLi256EDF16_DF16_fPKPDF16_EviT3_lT4_lT_li.uses_vcc, 1
	.set _ZL19rocblas_scal_kernelIiLi256EDF16_DF16_fPKPDF16_EviT3_lT4_lT_li.uses_flat_scratch, 0
	.set _ZL19rocblas_scal_kernelIiLi256EDF16_DF16_fPKPDF16_EviT3_lT4_lT_li.has_dyn_sized_stack, 0
	.set _ZL19rocblas_scal_kernelIiLi256EDF16_DF16_fPKPDF16_EviT3_lT4_lT_li.has_recursion, 0
	.set _ZL19rocblas_scal_kernelIiLi256EDF16_DF16_fPKPDF16_EviT3_lT4_lT_li.has_indirect_call, 0
	.section	.AMDGPU.csdata,"",@progbits
; Kernel info:
; codeLenInByte = 296
; TotalNumSgprs: 14
; NumVgprs: 5
; ScratchSize: 0
; MemoryBound: 0
; FloatMode: 240
; IeeeMode: 1
; LDSByteSize: 0 bytes/workgroup (compile time only)
; SGPRBlocks: 0
; VGPRBlocks: 0
; NumSGPRsForWavesPerEU: 14
; NumVGPRsForWavesPerEU: 5
; NamedBarCnt: 0
; Occupancy: 16
; WaveLimiterHint : 1
; COMPUTE_PGM_RSRC2:SCRATCH_EN: 0
; COMPUTE_PGM_RSRC2:USER_SGPR: 2
; COMPUTE_PGM_RSRC2:TRAP_HANDLER: 0
; COMPUTE_PGM_RSRC2:TGID_X_EN: 1
; COMPUTE_PGM_RSRC2:TGID_Y_EN: 0
; COMPUTE_PGM_RSRC2:TGID_Z_EN: 1
; COMPUTE_PGM_RSRC2:TIDIG_COMP_CNT: 0
	.section	.text._ZL19rocblas_scal_kernelIlLi256EDF16_DF16_PKfPKPDF16_EviT3_lT4_lT_li,"axG",@progbits,_ZL19rocblas_scal_kernelIlLi256EDF16_DF16_PKfPKPDF16_EviT3_lT4_lT_li,comdat
	.globl	_ZL19rocblas_scal_kernelIlLi256EDF16_DF16_PKfPKPDF16_EviT3_lT4_lT_li ; -- Begin function _ZL19rocblas_scal_kernelIlLi256EDF16_DF16_PKfPKPDF16_EviT3_lT4_lT_li
	.p2align	8
	.type	_ZL19rocblas_scal_kernelIlLi256EDF16_DF16_PKfPKPDF16_EviT3_lT4_lT_li,@function
_ZL19rocblas_scal_kernelIlLi256EDF16_DF16_PKfPKPDF16_EviT3_lT4_lT_li: ; @_ZL19rocblas_scal_kernelIlLi256EDF16_DF16_PKfPKPDF16_EviT3_lT4_lT_li
; %bb.0:
	s_load_b32 s12, s[0:1], 0x38
	s_bfe_u32 s2, ttmp6, 0x40014
	s_lshr_b32 s3, ttmp7, 16
	s_add_co_i32 s2, s2, 1
	s_bfe_u32 s5, ttmp6, 0x40008
	s_mul_i32 s2, s3, s2
	s_getreg_b32 s4, hwreg(HW_REG_IB_STS2, 6, 4)
	s_add_co_i32 s5, s5, s2
	s_cmp_eq_u32 s4, 0
	s_cselect_b32 s2, s3, s5
	s_mov_b32 s3, 0
	s_wait_kmcnt 0x0
	s_cmp_ge_u32 s2, s12
	s_cbranch_scc1 .LBB50_5
; %bb.1:
	s_load_b64 s[6:7], s[0:1], 0x28
	s_bfe_u32 s5, ttmp6, 0x4000c
	s_and_b32 s8, ttmp6, 15
	s_add_co_i32 s5, s5, 1
	v_mov_b32_e32 v3, 0
	s_mul_i32 s5, ttmp9, s5
	s_delay_alu instid0(SALU_CYCLE_1) | instskip(SKIP_2) | instid1(SALU_CYCLE_1)
	s_add_co_i32 s8, s8, s5
	s_cmp_eq_u32 s4, 0
	s_cselect_b32 s4, ttmp9, s8
	v_lshl_or_b32 v2, s4, 8, v0
	s_wait_kmcnt 0x0
	s_delay_alu instid0(VALU_DEP_1)
	v_mul_u64_e32 v[0:1], s[6:7], v[2:3]
	s_clause 0x1
	s_load_b32 s13, s[0:1], 0x0
	s_load_b256 s[4:11], s[0:1], 0x8
	s_wait_kmcnt 0x0
	v_cmp_gt_u32_e32 vcc_lo, s13, v2
	s_lshl_b64 s[0:1], s[10:11], 1
	s_branch .LBB50_3
.LBB50_2:                               ;   in Loop: Header=BB50_3 Depth=1
	s_wait_xcnt 0x0
	s_or_b32 exec_lo, exec_lo, s11
	s_add_co_i32 s2, s2, 0x10000
	s_delay_alu instid0(SALU_CYCLE_1)
	s_cmp_lt_u32 s2, s12
	s_cbranch_scc0 .LBB50_5
.LBB50_3:                               ; =>This Inner Loop Header: Depth=1
	s_mul_u64 s[10:11], s[6:7], s[2:3]
	s_delay_alu instid0(SALU_CYCLE_1) | instskip(NEXT) | instid1(SALU_CYCLE_1)
	s_lshl_b64 s[10:11], s[10:11], 2
	s_add_nc_u64 s[10:11], s[4:5], s[10:11]
	s_load_b32 s10, s[10:11], 0x0
	s_wait_kmcnt 0x0
	s_cmp_neq_f32 s10, 1.0
	s_wait_xcnt 0x0
	s_cselect_b32 s11, -1, 0
	s_delay_alu instid0(SALU_CYCLE_1) | instskip(NEXT) | instid1(SALU_CYCLE_1)
	s_and_b32 s13, vcc_lo, s11
	s_and_saveexec_b32 s11, s13
	s_cbranch_execz .LBB50_2
; %bb.4:                                ;   in Loop: Header=BB50_3 Depth=1
	s_lshl_b64 s[14:15], s[2:3], 3
	s_delay_alu instid0(SALU_CYCLE_1)
	s_add_nc_u64 s[14:15], s[8:9], s[14:15]
	s_load_b64 s[14:15], s[14:15], 0x0
	s_wait_kmcnt 0x0
	s_wait_xcnt 0x0
	s_add_nc_u64 s[14:15], s[14:15], s[0:1]
	s_delay_alu instid0(VALU_DEP_2) | instid1(SALU_CYCLE_1)
	v_lshl_add_u64 v[2:3], v[0:1], 1, s[14:15]
	flat_load_u16 v4, v[2:3]
	s_wait_loadcnt_dscnt 0x0
	v_fma_mixlo_f16 v4, s10, v4, 0 op_sel_hi:[0,1,0]
	flat_store_b16 v[2:3], v4
	s_branch .LBB50_2
.LBB50_5:
	s_endpgm
	.section	.rodata,"a",@progbits
	.p2align	6, 0x0
	.amdhsa_kernel _ZL19rocblas_scal_kernelIlLi256EDF16_DF16_PKfPKPDF16_EviT3_lT4_lT_li
		.amdhsa_group_segment_fixed_size 0
		.amdhsa_private_segment_fixed_size 0
		.amdhsa_kernarg_size 60
		.amdhsa_user_sgpr_count 2
		.amdhsa_user_sgpr_dispatch_ptr 0
		.amdhsa_user_sgpr_queue_ptr 0
		.amdhsa_user_sgpr_kernarg_segment_ptr 1
		.amdhsa_user_sgpr_dispatch_id 0
		.amdhsa_user_sgpr_kernarg_preload_length 0
		.amdhsa_user_sgpr_kernarg_preload_offset 0
		.amdhsa_user_sgpr_private_segment_size 0
		.amdhsa_wavefront_size32 1
		.amdhsa_uses_dynamic_stack 0
		.amdhsa_enable_private_segment 0
		.amdhsa_system_sgpr_workgroup_id_x 1
		.amdhsa_system_sgpr_workgroup_id_y 0
		.amdhsa_system_sgpr_workgroup_id_z 1
		.amdhsa_system_sgpr_workgroup_info 0
		.amdhsa_system_vgpr_workitem_id 0
		.amdhsa_next_free_vgpr 5
		.amdhsa_next_free_sgpr 16
		.amdhsa_named_barrier_count 0
		.amdhsa_reserve_vcc 1
		.amdhsa_float_round_mode_32 0
		.amdhsa_float_round_mode_16_64 0
		.amdhsa_float_denorm_mode_32 3
		.amdhsa_float_denorm_mode_16_64 3
		.amdhsa_fp16_overflow 0
		.amdhsa_memory_ordered 1
		.amdhsa_forward_progress 1
		.amdhsa_inst_pref_size 3
		.amdhsa_round_robin_scheduling 0
		.amdhsa_exception_fp_ieee_invalid_op 0
		.amdhsa_exception_fp_denorm_src 0
		.amdhsa_exception_fp_ieee_div_zero 0
		.amdhsa_exception_fp_ieee_overflow 0
		.amdhsa_exception_fp_ieee_underflow 0
		.amdhsa_exception_fp_ieee_inexact 0
		.amdhsa_exception_int_div_zero 0
	.end_amdhsa_kernel
	.section	.text._ZL19rocblas_scal_kernelIlLi256EDF16_DF16_PKfPKPDF16_EviT3_lT4_lT_li,"axG",@progbits,_ZL19rocblas_scal_kernelIlLi256EDF16_DF16_PKfPKPDF16_EviT3_lT4_lT_li,comdat
.Lfunc_end50:
	.size	_ZL19rocblas_scal_kernelIlLi256EDF16_DF16_PKfPKPDF16_EviT3_lT4_lT_li, .Lfunc_end50-_ZL19rocblas_scal_kernelIlLi256EDF16_DF16_PKfPKPDF16_EviT3_lT4_lT_li
                                        ; -- End function
	.set _ZL19rocblas_scal_kernelIlLi256EDF16_DF16_PKfPKPDF16_EviT3_lT4_lT_li.num_vgpr, 5
	.set _ZL19rocblas_scal_kernelIlLi256EDF16_DF16_PKfPKPDF16_EviT3_lT4_lT_li.num_agpr, 0
	.set _ZL19rocblas_scal_kernelIlLi256EDF16_DF16_PKfPKPDF16_EviT3_lT4_lT_li.numbered_sgpr, 16
	.set _ZL19rocblas_scal_kernelIlLi256EDF16_DF16_PKfPKPDF16_EviT3_lT4_lT_li.num_named_barrier, 0
	.set _ZL19rocblas_scal_kernelIlLi256EDF16_DF16_PKfPKPDF16_EviT3_lT4_lT_li.private_seg_size, 0
	.set _ZL19rocblas_scal_kernelIlLi256EDF16_DF16_PKfPKPDF16_EviT3_lT4_lT_li.uses_vcc, 1
	.set _ZL19rocblas_scal_kernelIlLi256EDF16_DF16_PKfPKPDF16_EviT3_lT4_lT_li.uses_flat_scratch, 0
	.set _ZL19rocblas_scal_kernelIlLi256EDF16_DF16_PKfPKPDF16_EviT3_lT4_lT_li.has_dyn_sized_stack, 0
	.set _ZL19rocblas_scal_kernelIlLi256EDF16_DF16_PKfPKPDF16_EviT3_lT4_lT_li.has_recursion, 0
	.set _ZL19rocblas_scal_kernelIlLi256EDF16_DF16_PKfPKPDF16_EviT3_lT4_lT_li.has_indirect_call, 0
	.section	.AMDGPU.csdata,"",@progbits
; Kernel info:
; codeLenInByte = 344
; TotalNumSgprs: 18
; NumVgprs: 5
; ScratchSize: 0
; MemoryBound: 0
; FloatMode: 240
; IeeeMode: 1
; LDSByteSize: 0 bytes/workgroup (compile time only)
; SGPRBlocks: 0
; VGPRBlocks: 0
; NumSGPRsForWavesPerEU: 18
; NumVGPRsForWavesPerEU: 5
; NamedBarCnt: 0
; Occupancy: 16
; WaveLimiterHint : 1
; COMPUTE_PGM_RSRC2:SCRATCH_EN: 0
; COMPUTE_PGM_RSRC2:USER_SGPR: 2
; COMPUTE_PGM_RSRC2:TRAP_HANDLER: 0
; COMPUTE_PGM_RSRC2:TGID_X_EN: 1
; COMPUTE_PGM_RSRC2:TGID_Y_EN: 0
; COMPUTE_PGM_RSRC2:TGID_Z_EN: 1
; COMPUTE_PGM_RSRC2:TIDIG_COMP_CNT: 0
	.section	.text._ZL19rocblas_scal_kernelIlLi256EDF16_DF16_fPKPDF16_EviT3_lT4_lT_li,"axG",@progbits,_ZL19rocblas_scal_kernelIlLi256EDF16_DF16_fPKPDF16_EviT3_lT4_lT_li,comdat
	.globl	_ZL19rocblas_scal_kernelIlLi256EDF16_DF16_fPKPDF16_EviT3_lT4_lT_li ; -- Begin function _ZL19rocblas_scal_kernelIlLi256EDF16_DF16_fPKPDF16_EviT3_lT4_lT_li
	.p2align	8
	.type	_ZL19rocblas_scal_kernelIlLi256EDF16_DF16_fPKPDF16_EviT3_lT4_lT_li,@function
_ZL19rocblas_scal_kernelIlLi256EDF16_DF16_fPKPDF16_EviT3_lT4_lT_li: ; @_ZL19rocblas_scal_kernelIlLi256EDF16_DF16_fPKPDF16_EviT3_lT4_lT_li
; %bb.0:
	s_load_b32 s8, s[0:1], 0x30
	s_bfe_u32 s2, ttmp6, 0x40014
	s_lshr_b32 s3, ttmp7, 16
	s_add_co_i32 s2, s2, 1
	s_bfe_u32 s5, ttmp6, 0x40008
	s_mul_i32 s4, s3, s2
	s_getreg_b32 s2, hwreg(HW_REG_IB_STS2, 6, 4)
	s_add_co_i32 s5, s5, s4
	s_cmp_eq_u32 s2, 0
	s_cselect_b32 s9, s3, s5
	s_wait_kmcnt 0x0
	s_cmp_ge_u32 s9, s8
	s_cbranch_scc1 .LBB51_5
; %bb.1:
	s_load_b64 s[4:5], s[0:1], 0x20
	s_bfe_u32 s3, ttmp6, 0x4000c
	s_and_b32 s6, ttmp6, 15
	s_add_co_i32 s3, s3, 1
	v_mov_b32_e32 v3, 0
	s_mul_i32 s3, ttmp9, s3
	s_delay_alu instid0(SALU_CYCLE_1) | instskip(SKIP_2) | instid1(SALU_CYCLE_1)
	s_add_co_i32 s6, s6, s3
	s_cmp_eq_u32 s2, 0
	s_cselect_b32 s2, ttmp9, s6
	v_lshl_or_b32 v2, s2, 8, v0
	s_wait_kmcnt 0x0
	s_delay_alu instid0(VALU_DEP_1)
	v_mul_u64_e32 v[0:1], s[4:5], v[2:3]
	s_clause 0x1
	s_load_b64 s[2:3], s[0:1], 0x0
	s_load_b128 s[4:7], s[0:1], 0x10
	s_wait_kmcnt 0x0
	s_cmp_neq_f32 s3, 1.0
	v_cmp_gt_u32_e32 vcc_lo, s2, v2
	s_cselect_b32 s0, -1, 0
	s_delay_alu instid0(SALU_CYCLE_1)
	s_and_b32 s2, vcc_lo, s0
	s_lshl_b64 s[0:1], s[6:7], 1
	s_branch .LBB51_3
.LBB51_2:                               ;   in Loop: Header=BB51_3 Depth=1
	s_wait_xcnt 0x0
	s_or_b32 exec_lo, exec_lo, s6
	s_add_co_i32 s9, s9, 0x10000
	s_delay_alu instid0(SALU_CYCLE_1)
	s_cmp_lt_u32 s9, s8
	s_cbranch_scc0 .LBB51_5
.LBB51_3:                               ; =>This Inner Loop Header: Depth=1
	s_and_saveexec_b32 s6, s2
	s_cbranch_execz .LBB51_2
; %bb.4:                                ;   in Loop: Header=BB51_3 Depth=1
	s_load_b64 s[10:11], s[4:5], s9 offset:0x0 scale_offset
	s_wait_kmcnt 0x0
	s_add_nc_u64 s[10:11], s[10:11], s[0:1]
	s_delay_alu instid0(VALU_DEP_2) | instid1(SALU_CYCLE_1)
	v_lshl_add_u64 v[2:3], v[0:1], 1, s[10:11]
	flat_load_u16 v4, v[2:3]
	s_wait_loadcnt_dscnt 0x0
	v_fma_mixlo_f16 v4, s3, v4, 0 op_sel_hi:[0,1,0]
	flat_store_b16 v[2:3], v4
	s_branch .LBB51_2
.LBB51_5:
	s_endpgm
	.section	.rodata,"a",@progbits
	.p2align	6, 0x0
	.amdhsa_kernel _ZL19rocblas_scal_kernelIlLi256EDF16_DF16_fPKPDF16_EviT3_lT4_lT_li
		.amdhsa_group_segment_fixed_size 0
		.amdhsa_private_segment_fixed_size 0
		.amdhsa_kernarg_size 52
		.amdhsa_user_sgpr_count 2
		.amdhsa_user_sgpr_dispatch_ptr 0
		.amdhsa_user_sgpr_queue_ptr 0
		.amdhsa_user_sgpr_kernarg_segment_ptr 1
		.amdhsa_user_sgpr_dispatch_id 0
		.amdhsa_user_sgpr_kernarg_preload_length 0
		.amdhsa_user_sgpr_kernarg_preload_offset 0
		.amdhsa_user_sgpr_private_segment_size 0
		.amdhsa_wavefront_size32 1
		.amdhsa_uses_dynamic_stack 0
		.amdhsa_enable_private_segment 0
		.amdhsa_system_sgpr_workgroup_id_x 1
		.amdhsa_system_sgpr_workgroup_id_y 0
		.amdhsa_system_sgpr_workgroup_id_z 1
		.amdhsa_system_sgpr_workgroup_info 0
		.amdhsa_system_vgpr_workitem_id 0
		.amdhsa_next_free_vgpr 5
		.amdhsa_next_free_sgpr 12
		.amdhsa_named_barrier_count 0
		.amdhsa_reserve_vcc 1
		.amdhsa_float_round_mode_32 0
		.amdhsa_float_round_mode_16_64 0
		.amdhsa_float_denorm_mode_32 3
		.amdhsa_float_denorm_mode_16_64 3
		.amdhsa_fp16_overflow 0
		.amdhsa_memory_ordered 1
		.amdhsa_forward_progress 1
		.amdhsa_inst_pref_size 3
		.amdhsa_round_robin_scheduling 0
		.amdhsa_exception_fp_ieee_invalid_op 0
		.amdhsa_exception_fp_denorm_src 0
		.amdhsa_exception_fp_ieee_div_zero 0
		.amdhsa_exception_fp_ieee_overflow 0
		.amdhsa_exception_fp_ieee_underflow 0
		.amdhsa_exception_fp_ieee_inexact 0
		.amdhsa_exception_int_div_zero 0
	.end_amdhsa_kernel
	.section	.text._ZL19rocblas_scal_kernelIlLi256EDF16_DF16_fPKPDF16_EviT3_lT4_lT_li,"axG",@progbits,_ZL19rocblas_scal_kernelIlLi256EDF16_DF16_fPKPDF16_EviT3_lT4_lT_li,comdat
.Lfunc_end51:
	.size	_ZL19rocblas_scal_kernelIlLi256EDF16_DF16_fPKPDF16_EviT3_lT4_lT_li, .Lfunc_end51-_ZL19rocblas_scal_kernelIlLi256EDF16_DF16_fPKPDF16_EviT3_lT4_lT_li
                                        ; -- End function
	.set _ZL19rocblas_scal_kernelIlLi256EDF16_DF16_fPKPDF16_EviT3_lT4_lT_li.num_vgpr, 5
	.set _ZL19rocblas_scal_kernelIlLi256EDF16_DF16_fPKPDF16_EviT3_lT4_lT_li.num_agpr, 0
	.set _ZL19rocblas_scal_kernelIlLi256EDF16_DF16_fPKPDF16_EviT3_lT4_lT_li.numbered_sgpr, 12
	.set _ZL19rocblas_scal_kernelIlLi256EDF16_DF16_fPKPDF16_EviT3_lT4_lT_li.num_named_barrier, 0
	.set _ZL19rocblas_scal_kernelIlLi256EDF16_DF16_fPKPDF16_EviT3_lT4_lT_li.private_seg_size, 0
	.set _ZL19rocblas_scal_kernelIlLi256EDF16_DF16_fPKPDF16_EviT3_lT4_lT_li.uses_vcc, 1
	.set _ZL19rocblas_scal_kernelIlLi256EDF16_DF16_fPKPDF16_EviT3_lT4_lT_li.uses_flat_scratch, 0
	.set _ZL19rocblas_scal_kernelIlLi256EDF16_DF16_fPKPDF16_EviT3_lT4_lT_li.has_dyn_sized_stack, 0
	.set _ZL19rocblas_scal_kernelIlLi256EDF16_DF16_fPKPDF16_EviT3_lT4_lT_li.has_recursion, 0
	.set _ZL19rocblas_scal_kernelIlLi256EDF16_DF16_fPKPDF16_EviT3_lT4_lT_li.has_indirect_call, 0
	.section	.AMDGPU.csdata,"",@progbits
; Kernel info:
; codeLenInByte = 292
; TotalNumSgprs: 14
; NumVgprs: 5
; ScratchSize: 0
; MemoryBound: 0
; FloatMode: 240
; IeeeMode: 1
; LDSByteSize: 0 bytes/workgroup (compile time only)
; SGPRBlocks: 0
; VGPRBlocks: 0
; NumSGPRsForWavesPerEU: 14
; NumVGPRsForWavesPerEU: 5
; NamedBarCnt: 0
; Occupancy: 16
; WaveLimiterHint : 1
; COMPUTE_PGM_RSRC2:SCRATCH_EN: 0
; COMPUTE_PGM_RSRC2:USER_SGPR: 2
; COMPUTE_PGM_RSRC2:TRAP_HANDLER: 0
; COMPUTE_PGM_RSRC2:TGID_X_EN: 1
; COMPUTE_PGM_RSRC2:TGID_Y_EN: 0
; COMPUTE_PGM_RSRC2:TGID_Z_EN: 1
; COMPUTE_PGM_RSRC2:TIDIG_COMP_CNT: 0
	.section	.text._ZL22rocblas_sscal_2_kernelILi256EffPKfPKPfEviT2_lT3_lli,"axG",@progbits,_ZL22rocblas_sscal_2_kernelILi256EffPKfPKPfEviT2_lT3_lli,comdat
	.globl	_ZL22rocblas_sscal_2_kernelILi256EffPKfPKPfEviT2_lT3_lli ; -- Begin function _ZL22rocblas_sscal_2_kernelILi256EffPKfPKPfEviT2_lT3_lli
	.p2align	8
	.type	_ZL22rocblas_sscal_2_kernelILi256EffPKfPKPfEviT2_lT3_lli,@function
_ZL22rocblas_sscal_2_kernelILi256EffPKfPKPfEviT2_lT3_lli: ; @_ZL22rocblas_sscal_2_kernelILi256EffPKfPKPfEviT2_lT3_lli
; %bb.0:
	s_load_b32 s12, s[0:1], 0x30
	s_bfe_u32 s2, ttmp6, 0x40014
	s_lshr_b32 s3, ttmp7, 16
	s_add_co_i32 s2, s2, 1
	s_bfe_u32 s4, ttmp6, 0x40008
	s_mul_i32 s2, s3, s2
	s_getreg_b32 s13, hwreg(HW_REG_IB_STS2, 6, 4)
	s_add_co_i32 s4, s4, s2
	s_cmp_eq_u32 s13, 0
	s_cselect_b32 s2, s3, s4
	s_mov_b32 s3, 0
	s_wait_kmcnt 0x0
	s_cmp_ge_u32 s2, s12
	s_cbranch_scc1 .LBB52_9
; %bb.1:
	s_load_b32 s14, s[0:1], 0x0
	s_bfe_u32 s15, ttmp6, 0x4000c
	s_load_b256 s[4:11], s[0:1], 0x8
	s_add_co_i32 s15, s15, 1
	s_wait_xcnt 0x0
	s_and_b32 s0, ttmp6, 15
	s_mul_i32 s1, ttmp9, s15
	v_dual_mov_b32 v1, 0 :: v_dual_lshlrev_b32 v0, 1, v0
	s_add_co_i32 s0, s0, s1
	s_cmp_eq_u32 s13, 0
	s_cselect_b32 s0, ttmp9, s0
	s_delay_alu instid0(VALU_DEP_1) | instid1(SALU_CYCLE_1)
	v_lshl_or_b32 v0, s0, 9, v0
	s_delay_alu instid0(VALU_DEP_1)
	v_or_b32_e32 v2, 1, v0
	s_wait_kmcnt 0x0
	s_bitcmp1_b32 s14, 0
	s_cselect_b32 s1, -1, 0
	s_add_co_i32 s0, s14, -1
	s_lshl_b64 s[10:11], s[10:11], 2
	v_cmp_eq_u32_e32 vcc_lo, s0, v0
	v_cmp_gt_u32_e64 s0, s14, v2
	s_and_b32 s1, s1, vcc_lo
	s_branch .LBB52_4
.LBB52_2:                               ;   in Loop: Header=BB52_4 Depth=1
	s_wait_xcnt 0x0
	s_or_b32 exec_lo, exec_lo, s13
.LBB52_3:                               ;   in Loop: Header=BB52_4 Depth=1
	s_add_co_i32 s2, s2, 0x10000
	s_delay_alu instid0(SALU_CYCLE_1)
	s_cmp_lt_u32 s2, s12
	s_cbranch_scc0 .LBB52_9
.LBB52_4:                               ; =>This Inner Loop Header: Depth=1
	s_wait_xcnt 0x0
	s_mul_u64 s[14:15], s[6:7], s[2:3]
	s_delay_alu instid0(SALU_CYCLE_1) | instskip(NEXT) | instid1(SALU_CYCLE_1)
	s_lshl_b64 s[14:15], s[14:15], 2
	s_add_nc_u64 s[14:15], s[4:5], s[14:15]
	global_load_b32 v2, v1, s[14:15]
	s_wait_loadcnt 0x0
	v_cmp_eq_f32_e32 vcc_lo, 1.0, v2
	s_cbranch_vccnz .LBB52_3
; %bb.5:                                ;   in Loop: Header=BB52_4 Depth=1
	s_wait_xcnt 0x0
	s_lshl_b64 s[14:15], s[2:3], 3
	s_delay_alu instid0(SALU_CYCLE_1) | instskip(SKIP_4) | instid1(SALU_CYCLE_1)
	s_add_nc_u64 s[14:15], s[8:9], s[14:15]
	s_load_b64 s[14:15], s[14:15], 0x0
	s_wait_kmcnt 0x0
	s_wait_xcnt 0x0
	s_add_nc_u64 s[14:15], s[14:15], s[10:11]
	v_lshl_add_u64 v[4:5], v[0:1], 2, s[14:15]
	s_and_saveexec_b32 s13, s0
	s_cbranch_execz .LBB52_7
; %bb.6:                                ;   in Loop: Header=BB52_4 Depth=1
	flat_load_b64 v[6:7], v[4:5]
	s_wait_loadcnt_dscnt 0x0
	v_pk_mul_f32 v[6:7], v[2:3], v[6:7] op_sel_hi:[0,1]
	flat_store_b64 v[4:5], v[6:7]
.LBB52_7:                               ;   in Loop: Header=BB52_4 Depth=1
	s_wait_xcnt 0x0
	s_or_b32 exec_lo, exec_lo, s13
	s_and_saveexec_b32 s13, s1
	s_cbranch_execz .LBB52_2
; %bb.8:                                ;   in Loop: Header=BB52_4 Depth=1
	flat_load_b32 v3, v[4:5]
	s_wait_loadcnt_dscnt 0x0
	v_mul_f32_e32 v2, v2, v3
	flat_store_b32 v[4:5], v2
	s_branch .LBB52_2
.LBB52_9:
	s_endpgm
	.section	.rodata,"a",@progbits
	.p2align	6, 0x0
	.amdhsa_kernel _ZL22rocblas_sscal_2_kernelILi256EffPKfPKPfEviT2_lT3_lli
		.amdhsa_group_segment_fixed_size 0
		.amdhsa_private_segment_fixed_size 0
		.amdhsa_kernarg_size 52
		.amdhsa_user_sgpr_count 2
		.amdhsa_user_sgpr_dispatch_ptr 0
		.amdhsa_user_sgpr_queue_ptr 0
		.amdhsa_user_sgpr_kernarg_segment_ptr 1
		.amdhsa_user_sgpr_dispatch_id 0
		.amdhsa_user_sgpr_kernarg_preload_length 0
		.amdhsa_user_sgpr_kernarg_preload_offset 0
		.amdhsa_user_sgpr_private_segment_size 0
		.amdhsa_wavefront_size32 1
		.amdhsa_uses_dynamic_stack 0
		.amdhsa_enable_private_segment 0
		.amdhsa_system_sgpr_workgroup_id_x 1
		.amdhsa_system_sgpr_workgroup_id_y 0
		.amdhsa_system_sgpr_workgroup_id_z 1
		.amdhsa_system_sgpr_workgroup_info 0
		.amdhsa_system_vgpr_workitem_id 0
		.amdhsa_next_free_vgpr 8
		.amdhsa_next_free_sgpr 16
		.amdhsa_named_barrier_count 0
		.amdhsa_reserve_vcc 1
		.amdhsa_float_round_mode_32 0
		.amdhsa_float_round_mode_16_64 0
		.amdhsa_float_denorm_mode_32 3
		.amdhsa_float_denorm_mode_16_64 3
		.amdhsa_fp16_overflow 0
		.amdhsa_memory_ordered 1
		.amdhsa_forward_progress 1
		.amdhsa_inst_pref_size 4
		.amdhsa_round_robin_scheduling 0
		.amdhsa_exception_fp_ieee_invalid_op 0
		.amdhsa_exception_fp_denorm_src 0
		.amdhsa_exception_fp_ieee_div_zero 0
		.amdhsa_exception_fp_ieee_overflow 0
		.amdhsa_exception_fp_ieee_underflow 0
		.amdhsa_exception_fp_ieee_inexact 0
		.amdhsa_exception_int_div_zero 0
	.end_amdhsa_kernel
	.section	.text._ZL22rocblas_sscal_2_kernelILi256EffPKfPKPfEviT2_lT3_lli,"axG",@progbits,_ZL22rocblas_sscal_2_kernelILi256EffPKfPKPfEviT2_lT3_lli,comdat
.Lfunc_end52:
	.size	_ZL22rocblas_sscal_2_kernelILi256EffPKfPKPfEviT2_lT3_lli, .Lfunc_end52-_ZL22rocblas_sscal_2_kernelILi256EffPKfPKPfEviT2_lT3_lli
                                        ; -- End function
	.set _ZL22rocblas_sscal_2_kernelILi256EffPKfPKPfEviT2_lT3_lli.num_vgpr, 8
	.set _ZL22rocblas_sscal_2_kernelILi256EffPKfPKPfEviT2_lT3_lli.num_agpr, 0
	.set _ZL22rocblas_sscal_2_kernelILi256EffPKfPKPfEviT2_lT3_lli.numbered_sgpr, 16
	.set _ZL22rocblas_sscal_2_kernelILi256EffPKfPKPfEviT2_lT3_lli.num_named_barrier, 0
	.set _ZL22rocblas_sscal_2_kernelILi256EffPKfPKPfEviT2_lT3_lli.private_seg_size, 0
	.set _ZL22rocblas_sscal_2_kernelILi256EffPKfPKPfEviT2_lT3_lli.uses_vcc, 1
	.set _ZL22rocblas_sscal_2_kernelILi256EffPKfPKPfEviT2_lT3_lli.uses_flat_scratch, 0
	.set _ZL22rocblas_sscal_2_kernelILi256EffPKfPKPfEviT2_lT3_lli.has_dyn_sized_stack, 0
	.set _ZL22rocblas_sscal_2_kernelILi256EffPKfPKPfEviT2_lT3_lli.has_recursion, 0
	.set _ZL22rocblas_sscal_2_kernelILi256EffPKfPKPfEviT2_lT3_lli.has_indirect_call, 0
	.section	.AMDGPU.csdata,"",@progbits
; Kernel info:
; codeLenInByte = 404
; TotalNumSgprs: 18
; NumVgprs: 8
; ScratchSize: 0
; MemoryBound: 0
; FloatMode: 240
; IeeeMode: 1
; LDSByteSize: 0 bytes/workgroup (compile time only)
; SGPRBlocks: 0
; VGPRBlocks: 0
; NumSGPRsForWavesPerEU: 18
; NumVGPRsForWavesPerEU: 8
; NamedBarCnt: 0
; Occupancy: 16
; WaveLimiterHint : 1
; COMPUTE_PGM_RSRC2:SCRATCH_EN: 0
; COMPUTE_PGM_RSRC2:USER_SGPR: 2
; COMPUTE_PGM_RSRC2:TRAP_HANDLER: 0
; COMPUTE_PGM_RSRC2:TGID_X_EN: 1
; COMPUTE_PGM_RSRC2:TGID_Y_EN: 0
; COMPUTE_PGM_RSRC2:TGID_Z_EN: 1
; COMPUTE_PGM_RSRC2:TIDIG_COMP_CNT: 0
	.section	.text._ZL22rocblas_sscal_2_kernelILi256EfffPKPfEviT2_lT3_lli,"axG",@progbits,_ZL22rocblas_sscal_2_kernelILi256EfffPKPfEviT2_lT3_lli,comdat
	.globl	_ZL22rocblas_sscal_2_kernelILi256EfffPKPfEviT2_lT3_lli ; -- Begin function _ZL22rocblas_sscal_2_kernelILi256EfffPKPfEviT2_lT3_lli
	.p2align	8
	.type	_ZL22rocblas_sscal_2_kernelILi256EfffPKPfEviT2_lT3_lli,@function
_ZL22rocblas_sscal_2_kernelILi256EfffPKPfEviT2_lT3_lli: ; @_ZL22rocblas_sscal_2_kernelILi256EfffPKPfEviT2_lT3_lli
; %bb.0:
	s_load_b32 s8, s[0:1], 0x28
	s_bfe_u32 s2, ttmp6, 0x40014
	s_lshr_b32 s3, ttmp7, 16
	s_add_co_i32 s2, s2, 1
	s_bfe_u32 s4, ttmp6, 0x40008
	s_mul_i32 s2, s3, s2
	s_getreg_b32 s10, hwreg(HW_REG_IB_STS2, 6, 4)
	s_add_co_i32 s4, s4, s2
	s_cmp_eq_u32 s10, 0
	s_cselect_b32 s9, s3, s4
	s_wait_kmcnt 0x0
	s_cmp_ge_u32 s9, s8
	s_cbranch_scc1 .LBB53_9
; %bb.1:
	s_clause 0x1
	s_load_b64 s[2:3], s[0:1], 0x0
	s_load_b128 s[4:7], s[0:1], 0x10
	s_bfe_u32 s11, ttmp6, 0x4000c
	s_wait_xcnt 0x0
	s_and_b32 s0, ttmp6, 15
	s_add_co_i32 s11, s11, 1
	v_dual_mov_b32 v1, 0 :: v_dual_lshlrev_b32 v0, 1, v0
	s_mul_i32 s1, ttmp9, s11
	s_delay_alu instid0(SALU_CYCLE_1) | instskip(SKIP_2) | instid1(SALU_CYCLE_1)
	s_add_co_i32 s0, s0, s1
	s_cmp_eq_u32 s10, 0
	s_cselect_b32 s0, ttmp9, s0
	v_lshl_or_b32 v0, s0, 9, v0
	s_delay_alu instid0(VALU_DEP_1)
	v_or_b32_e32 v2, 1, v0
	s_wait_kmcnt 0x0
	s_cmp_neq_f32 s3, 1.0
	s_cselect_b32 s1, -1, 0
	s_bitcmp1_b32 s2, 0
	s_cselect_b32 s10, -1, 0
	s_add_co_i32 s0, s2, -1
	s_lshl_b64 s[6:7], s[6:7], 2
	v_cmp_eq_u32_e32 vcc_lo, s0, v0
	v_cmp_gt_u32_e64 s0, s2, v2
	s_mov_b32 s2, s3
	s_and_b32 s10, s10, vcc_lo
	s_branch .LBB53_4
.LBB53_2:                               ;   in Loop: Header=BB53_4 Depth=1
	s_wait_xcnt 0x0
	s_or_b32 exec_lo, exec_lo, s11
.LBB53_3:                               ;   in Loop: Header=BB53_4 Depth=1
	s_add_co_i32 s9, s9, 0x10000
	s_delay_alu instid0(SALU_CYCLE_1)
	s_cmp_lt_u32 s9, s8
	s_cbranch_scc0 .LBB53_9
.LBB53_4:                               ; =>This Inner Loop Header: Depth=1
	s_and_not1_b32 vcc_lo, exec_lo, s1
	s_cbranch_vccnz .LBB53_3
; %bb.5:                                ;   in Loop: Header=BB53_4 Depth=1
	s_load_b64 s[12:13], s[4:5], s9 offset:0x0 scale_offset
	s_wait_kmcnt 0x0
	s_add_nc_u64 s[12:13], s[12:13], s[6:7]
	s_delay_alu instid0(SALU_CYCLE_1)
	v_lshl_add_u64 v[2:3], v[0:1], 2, s[12:13]
	s_and_saveexec_b32 s11, s0
	s_cbranch_execz .LBB53_7
; %bb.6:                                ;   in Loop: Header=BB53_4 Depth=1
	flat_load_b64 v[4:5], v[2:3]
	v_mov_b64_e32 v[6:7], s[2:3]
	s_wait_loadcnt_dscnt 0x0
	s_delay_alu instid0(VALU_DEP_1)
	v_pk_mul_f32 v[4:5], v[6:7], v[4:5]
	flat_store_b64 v[2:3], v[4:5]
.LBB53_7:                               ;   in Loop: Header=BB53_4 Depth=1
	s_wait_xcnt 0x0
	s_or_b32 exec_lo, exec_lo, s11
	s_and_saveexec_b32 s11, s10
	s_cbranch_execz .LBB53_2
; %bb.8:                                ;   in Loop: Header=BB53_4 Depth=1
	flat_load_b32 v4, v[2:3]
	s_wait_loadcnt_dscnt 0x0
	v_mul_f32_e32 v4, s3, v4
	flat_store_b32 v[2:3], v4
	s_branch .LBB53_2
.LBB53_9:
	s_endpgm
	.section	.rodata,"a",@progbits
	.p2align	6, 0x0
	.amdhsa_kernel _ZL22rocblas_sscal_2_kernelILi256EfffPKPfEviT2_lT3_lli
		.amdhsa_group_segment_fixed_size 0
		.amdhsa_private_segment_fixed_size 0
		.amdhsa_kernarg_size 44
		.amdhsa_user_sgpr_count 2
		.amdhsa_user_sgpr_dispatch_ptr 0
		.amdhsa_user_sgpr_queue_ptr 0
		.amdhsa_user_sgpr_kernarg_segment_ptr 1
		.amdhsa_user_sgpr_dispatch_id 0
		.amdhsa_user_sgpr_kernarg_preload_length 0
		.amdhsa_user_sgpr_kernarg_preload_offset 0
		.amdhsa_user_sgpr_private_segment_size 0
		.amdhsa_wavefront_size32 1
		.amdhsa_uses_dynamic_stack 0
		.amdhsa_enable_private_segment 0
		.amdhsa_system_sgpr_workgroup_id_x 1
		.amdhsa_system_sgpr_workgroup_id_y 0
		.amdhsa_system_sgpr_workgroup_id_z 1
		.amdhsa_system_sgpr_workgroup_info 0
		.amdhsa_system_vgpr_workitem_id 0
		.amdhsa_next_free_vgpr 8
		.amdhsa_next_free_sgpr 14
		.amdhsa_named_barrier_count 0
		.amdhsa_reserve_vcc 1
		.amdhsa_float_round_mode_32 0
		.amdhsa_float_round_mode_16_64 0
		.amdhsa_float_denorm_mode_32 3
		.amdhsa_float_denorm_mode_16_64 3
		.amdhsa_fp16_overflow 0
		.amdhsa_memory_ordered 1
		.amdhsa_forward_progress 1
		.amdhsa_inst_pref_size 3
		.amdhsa_round_robin_scheduling 0
		.amdhsa_exception_fp_ieee_invalid_op 0
		.amdhsa_exception_fp_denorm_src 0
		.amdhsa_exception_fp_ieee_div_zero 0
		.amdhsa_exception_fp_ieee_overflow 0
		.amdhsa_exception_fp_ieee_underflow 0
		.amdhsa_exception_fp_ieee_inexact 0
		.amdhsa_exception_int_div_zero 0
	.end_amdhsa_kernel
	.section	.text._ZL22rocblas_sscal_2_kernelILi256EfffPKPfEviT2_lT3_lli,"axG",@progbits,_ZL22rocblas_sscal_2_kernelILi256EfffPKPfEviT2_lT3_lli,comdat
.Lfunc_end53:
	.size	_ZL22rocblas_sscal_2_kernelILi256EfffPKPfEviT2_lT3_lli, .Lfunc_end53-_ZL22rocblas_sscal_2_kernelILi256EfffPKPfEviT2_lT3_lli
                                        ; -- End function
	.set _ZL22rocblas_sscal_2_kernelILi256EfffPKPfEviT2_lT3_lli.num_vgpr, 8
	.set _ZL22rocblas_sscal_2_kernelILi256EfffPKPfEviT2_lT3_lli.num_agpr, 0
	.set _ZL22rocblas_sscal_2_kernelILi256EfffPKPfEviT2_lT3_lli.numbered_sgpr, 14
	.set _ZL22rocblas_sscal_2_kernelILi256EfffPKPfEviT2_lT3_lli.num_named_barrier, 0
	.set _ZL22rocblas_sscal_2_kernelILi256EfffPKPfEviT2_lT3_lli.private_seg_size, 0
	.set _ZL22rocblas_sscal_2_kernelILi256EfffPKPfEviT2_lT3_lli.uses_vcc, 1
	.set _ZL22rocblas_sscal_2_kernelILi256EfffPKPfEviT2_lT3_lli.uses_flat_scratch, 0
	.set _ZL22rocblas_sscal_2_kernelILi256EfffPKPfEviT2_lT3_lli.has_dyn_sized_stack, 0
	.set _ZL22rocblas_sscal_2_kernelILi256EfffPKPfEviT2_lT3_lli.has_recursion, 0
	.set _ZL22rocblas_sscal_2_kernelILi256EfffPKPfEviT2_lT3_lli.has_indirect_call, 0
	.section	.AMDGPU.csdata,"",@progbits
; Kernel info:
; codeLenInByte = 372
; TotalNumSgprs: 16
; NumVgprs: 8
; ScratchSize: 0
; MemoryBound: 0
; FloatMode: 240
; IeeeMode: 1
; LDSByteSize: 0 bytes/workgroup (compile time only)
; SGPRBlocks: 0
; VGPRBlocks: 0
; NumSGPRsForWavesPerEU: 16
; NumVGPRsForWavesPerEU: 8
; NamedBarCnt: 0
; Occupancy: 16
; WaveLimiterHint : 1
; COMPUTE_PGM_RSRC2:SCRATCH_EN: 0
; COMPUTE_PGM_RSRC2:USER_SGPR: 2
; COMPUTE_PGM_RSRC2:TRAP_HANDLER: 0
; COMPUTE_PGM_RSRC2:TGID_X_EN: 1
; COMPUTE_PGM_RSRC2:TGID_Y_EN: 0
; COMPUTE_PGM_RSRC2:TGID_Z_EN: 1
; COMPUTE_PGM_RSRC2:TIDIG_COMP_CNT: 0
	.section	.text._ZL19rocblas_scal_kernelIiLi256EffPKfPKPfEviT3_lT4_lT_li,"axG",@progbits,_ZL19rocblas_scal_kernelIiLi256EffPKfPKPfEviT3_lT4_lT_li,comdat
	.globl	_ZL19rocblas_scal_kernelIiLi256EffPKfPKPfEviT3_lT4_lT_li ; -- Begin function _ZL19rocblas_scal_kernelIiLi256EffPKfPKPfEviT3_lT4_lT_li
	.p2align	8
	.type	_ZL19rocblas_scal_kernelIiLi256EffPKfPKPfEviT3_lT4_lT_li,@function
_ZL19rocblas_scal_kernelIiLi256EffPKfPKPfEviT3_lT4_lT_li: ; @_ZL19rocblas_scal_kernelIiLi256EffPKfPKPfEviT3_lT4_lT_li
; %bb.0:
	s_load_b32 s12, s[0:1], 0x38
	s_bfe_u32 s2, ttmp6, 0x40014
	s_lshr_b32 s3, ttmp7, 16
	s_add_co_i32 s2, s2, 1
	s_bfe_u32 s5, ttmp6, 0x40008
	s_mul_i32 s2, s3, s2
	s_getreg_b32 s4, hwreg(HW_REG_IB_STS2, 6, 4)
	s_add_co_i32 s5, s5, s2
	s_cmp_eq_u32 s4, 0
	s_cselect_b32 s2, s3, s5
	s_mov_b32 s3, 0
	s_wait_kmcnt 0x0
	s_cmp_ge_u32 s2, s12
	s_cbranch_scc1 .LBB54_5
; %bb.1:
	s_load_b32 s6, s[0:1], 0x28
	s_bfe_u32 s5, ttmp6, 0x4000c
	s_and_b32 s7, ttmp6, 15
	s_add_co_i32 s5, s5, 1
	v_mov_b32_e32 v1, 0
	s_mul_i32 s5, ttmp9, s5
	s_delay_alu instid0(SALU_CYCLE_1) | instskip(SKIP_4) | instid1(SALU_CYCLE_1)
	s_add_co_i32 s5, s7, s5
	s_wait_kmcnt 0x0
	s_ashr_i32 s7, s6, 31
	s_cmp_eq_u32 s4, 0
	s_cselect_b32 s4, ttmp9, s5
	v_lshl_or_b32 v0, s4, 8, v0
	s_delay_alu instid0(VALU_DEP_1)
	v_mul_u64_e32 v[2:3], s[6:7], v[0:1]
	s_clause 0x1
	s_load_b32 s13, s[0:1], 0x0
	s_load_b256 s[4:11], s[0:1], 0x8
	s_wait_kmcnt 0x0
	v_cmp_gt_u32_e32 vcc_lo, s13, v0
	s_lshl_b64 s[0:1], s[10:11], 2
	s_branch .LBB54_3
.LBB54_2:                               ;   in Loop: Header=BB54_3 Depth=1
	s_wait_xcnt 0x0
	s_or_b32 exec_lo, exec_lo, s10
	s_add_co_i32 s2, s2, 0x10000
	s_delay_alu instid0(SALU_CYCLE_1)
	s_cmp_lt_u32 s2, s12
	s_cbranch_scc0 .LBB54_5
.LBB54_3:                               ; =>This Inner Loop Header: Depth=1
	s_mul_u64 s[10:11], s[6:7], s[2:3]
	s_delay_alu instid0(SALU_CYCLE_1) | instskip(NEXT) | instid1(SALU_CYCLE_1)
	s_lshl_b64 s[10:11], s[10:11], 2
	s_add_nc_u64 s[10:11], s[4:5], s[10:11]
	global_load_b32 v0, v1, s[10:11]
	s_wait_loadcnt 0x0
	s_wait_xcnt 0x0
	v_readfirstlane_b32 s10, v0
	s_cmp_neq_f32 s10, 1.0
	s_cselect_b32 s10, -1, 0
	s_delay_alu instid0(SALU_CYCLE_1) | instskip(NEXT) | instid1(SALU_CYCLE_1)
	s_and_b32 s11, vcc_lo, s10
	s_and_saveexec_b32 s10, s11
	s_cbranch_execz .LBB54_2
; %bb.4:                                ;   in Loop: Header=BB54_3 Depth=1
	s_lshl_b64 s[14:15], s[2:3], 3
	s_delay_alu instid0(SALU_CYCLE_1) | instskip(SKIP_4) | instid1(SALU_CYCLE_1)
	s_add_nc_u64 s[14:15], s[8:9], s[14:15]
	s_load_b64 s[14:15], s[14:15], 0x0
	s_wait_kmcnt 0x0
	s_wait_xcnt 0x0
	s_add_nc_u64 s[14:15], s[14:15], s[0:1]
	v_lshl_add_u64 v[4:5], v[2:3], 2, s[14:15]
	flat_load_b32 v6, v[4:5]
	s_wait_loadcnt_dscnt 0x0
	v_mul_f32_e32 v0, v0, v6
	flat_store_b32 v[4:5], v0
	s_branch .LBB54_2
.LBB54_5:
	s_endpgm
	.section	.rodata,"a",@progbits
	.p2align	6, 0x0
	.amdhsa_kernel _ZL19rocblas_scal_kernelIiLi256EffPKfPKPfEviT3_lT4_lT_li
		.amdhsa_group_segment_fixed_size 0
		.amdhsa_private_segment_fixed_size 0
		.amdhsa_kernarg_size 60
		.amdhsa_user_sgpr_count 2
		.amdhsa_user_sgpr_dispatch_ptr 0
		.amdhsa_user_sgpr_queue_ptr 0
		.amdhsa_user_sgpr_kernarg_segment_ptr 1
		.amdhsa_user_sgpr_dispatch_id 0
		.amdhsa_user_sgpr_kernarg_preload_length 0
		.amdhsa_user_sgpr_kernarg_preload_offset 0
		.amdhsa_user_sgpr_private_segment_size 0
		.amdhsa_wavefront_size32 1
		.amdhsa_uses_dynamic_stack 0
		.amdhsa_enable_private_segment 0
		.amdhsa_system_sgpr_workgroup_id_x 1
		.amdhsa_system_sgpr_workgroup_id_y 0
		.amdhsa_system_sgpr_workgroup_id_z 1
		.amdhsa_system_sgpr_workgroup_info 0
		.amdhsa_system_vgpr_workitem_id 0
		.amdhsa_next_free_vgpr 7
		.amdhsa_next_free_sgpr 16
		.amdhsa_named_barrier_count 0
		.amdhsa_reserve_vcc 1
		.amdhsa_float_round_mode_32 0
		.amdhsa_float_round_mode_16_64 0
		.amdhsa_float_denorm_mode_32 3
		.amdhsa_float_denorm_mode_16_64 3
		.amdhsa_fp16_overflow 0
		.amdhsa_memory_ordered 1
		.amdhsa_forward_progress 1
		.amdhsa_inst_pref_size 3
		.amdhsa_round_robin_scheduling 0
		.amdhsa_exception_fp_ieee_invalid_op 0
		.amdhsa_exception_fp_denorm_src 0
		.amdhsa_exception_fp_ieee_div_zero 0
		.amdhsa_exception_fp_ieee_overflow 0
		.amdhsa_exception_fp_ieee_underflow 0
		.amdhsa_exception_fp_ieee_inexact 0
		.amdhsa_exception_int_div_zero 0
	.end_amdhsa_kernel
	.section	.text._ZL19rocblas_scal_kernelIiLi256EffPKfPKPfEviT3_lT4_lT_li,"axG",@progbits,_ZL19rocblas_scal_kernelIiLi256EffPKfPKPfEviT3_lT4_lT_li,comdat
.Lfunc_end54:
	.size	_ZL19rocblas_scal_kernelIiLi256EffPKfPKPfEviT3_lT4_lT_li, .Lfunc_end54-_ZL19rocblas_scal_kernelIiLi256EffPKfPKPfEviT3_lT4_lT_li
                                        ; -- End function
	.set _ZL19rocblas_scal_kernelIiLi256EffPKfPKPfEviT3_lT4_lT_li.num_vgpr, 7
	.set _ZL19rocblas_scal_kernelIiLi256EffPKfPKPfEviT3_lT4_lT_li.num_agpr, 0
	.set _ZL19rocblas_scal_kernelIiLi256EffPKfPKPfEviT3_lT4_lT_li.numbered_sgpr, 16
	.set _ZL19rocblas_scal_kernelIiLi256EffPKfPKPfEviT3_lT4_lT_li.num_named_barrier, 0
	.set _ZL19rocblas_scal_kernelIiLi256EffPKfPKPfEviT3_lT4_lT_li.private_seg_size, 0
	.set _ZL19rocblas_scal_kernelIiLi256EffPKfPKPfEviT3_lT4_lT_li.uses_vcc, 1
	.set _ZL19rocblas_scal_kernelIiLi256EffPKfPKPfEviT3_lT4_lT_li.uses_flat_scratch, 0
	.set _ZL19rocblas_scal_kernelIiLi256EffPKfPKPfEviT3_lT4_lT_li.has_dyn_sized_stack, 0
	.set _ZL19rocblas_scal_kernelIiLi256EffPKfPKPfEviT3_lT4_lT_li.has_recursion, 0
	.set _ZL19rocblas_scal_kernelIiLi256EffPKfPKPfEviT3_lT4_lT_li.has_indirect_call, 0
	.section	.AMDGPU.csdata,"",@progbits
; Kernel info:
; codeLenInByte = 348
; TotalNumSgprs: 18
; NumVgprs: 7
; ScratchSize: 0
; MemoryBound: 0
; FloatMode: 240
; IeeeMode: 1
; LDSByteSize: 0 bytes/workgroup (compile time only)
; SGPRBlocks: 0
; VGPRBlocks: 0
; NumSGPRsForWavesPerEU: 18
; NumVGPRsForWavesPerEU: 7
; NamedBarCnt: 0
; Occupancy: 16
; WaveLimiterHint : 1
; COMPUTE_PGM_RSRC2:SCRATCH_EN: 0
; COMPUTE_PGM_RSRC2:USER_SGPR: 2
; COMPUTE_PGM_RSRC2:TRAP_HANDLER: 0
; COMPUTE_PGM_RSRC2:TGID_X_EN: 1
; COMPUTE_PGM_RSRC2:TGID_Y_EN: 0
; COMPUTE_PGM_RSRC2:TGID_Z_EN: 1
; COMPUTE_PGM_RSRC2:TIDIG_COMP_CNT: 0
	.section	.text._ZL19rocblas_scal_kernelIiLi256EfffPKPfEviT3_lT4_lT_li,"axG",@progbits,_ZL19rocblas_scal_kernelIiLi256EfffPKPfEviT3_lT4_lT_li,comdat
	.globl	_ZL19rocblas_scal_kernelIiLi256EfffPKPfEviT3_lT4_lT_li ; -- Begin function _ZL19rocblas_scal_kernelIiLi256EfffPKPfEviT3_lT4_lT_li
	.p2align	8
	.type	_ZL19rocblas_scal_kernelIiLi256EfffPKPfEviT3_lT4_lT_li,@function
_ZL19rocblas_scal_kernelIiLi256EfffPKPfEviT3_lT4_lT_li: ; @_ZL19rocblas_scal_kernelIiLi256EfffPKPfEviT3_lT4_lT_li
; %bb.0:
	s_load_b32 s8, s[0:1], 0x30
	s_bfe_u32 s2, ttmp6, 0x40014
	s_lshr_b32 s3, ttmp7, 16
	s_add_co_i32 s2, s2, 1
	s_bfe_u32 s5, ttmp6, 0x40008
	s_mul_i32 s4, s3, s2
	s_getreg_b32 s2, hwreg(HW_REG_IB_STS2, 6, 4)
	s_add_co_i32 s5, s5, s4
	s_cmp_eq_u32 s2, 0
	s_cselect_b32 s9, s3, s5
	s_wait_kmcnt 0x0
	s_cmp_ge_u32 s9, s8
	s_cbranch_scc1 .LBB55_5
; %bb.1:
	s_load_b32 s4, s[0:1], 0x20
	s_bfe_u32 s3, ttmp6, 0x4000c
	s_and_b32 s5, ttmp6, 15
	s_add_co_i32 s3, s3, 1
	v_mov_b32_e32 v3, 0
	s_mul_i32 s3, ttmp9, s3
	s_delay_alu instid0(SALU_CYCLE_1) | instskip(SKIP_4) | instid1(SALU_CYCLE_1)
	s_add_co_i32 s3, s5, s3
	s_wait_kmcnt 0x0
	s_ashr_i32 s5, s4, 31
	s_cmp_eq_u32 s2, 0
	s_cselect_b32 s2, ttmp9, s3
	v_lshl_or_b32 v2, s2, 8, v0
	s_delay_alu instid0(VALU_DEP_1)
	v_mul_u64_e32 v[0:1], s[4:5], v[2:3]
	s_clause 0x1
	s_load_b64 s[2:3], s[0:1], 0x0
	s_load_b128 s[4:7], s[0:1], 0x10
	s_wait_kmcnt 0x0
	s_cmp_neq_f32 s3, 1.0
	v_cmp_gt_u32_e32 vcc_lo, s2, v2
	s_cselect_b32 s0, -1, 0
	s_delay_alu instid0(SALU_CYCLE_1)
	s_and_b32 s2, vcc_lo, s0
	s_lshl_b64 s[0:1], s[6:7], 2
	s_branch .LBB55_3
.LBB55_2:                               ;   in Loop: Header=BB55_3 Depth=1
	s_wait_xcnt 0x0
	s_or_b32 exec_lo, exec_lo, s6
	s_add_co_i32 s9, s9, 0x10000
	s_delay_alu instid0(SALU_CYCLE_1)
	s_cmp_lt_u32 s9, s8
	s_cbranch_scc0 .LBB55_5
.LBB55_3:                               ; =>This Inner Loop Header: Depth=1
	s_and_saveexec_b32 s6, s2
	s_cbranch_execz .LBB55_2
; %bb.4:                                ;   in Loop: Header=BB55_3 Depth=1
	s_load_b64 s[10:11], s[4:5], s9 offset:0x0 scale_offset
	s_wait_kmcnt 0x0
	s_add_nc_u64 s[10:11], s[10:11], s[0:1]
	s_delay_alu instid0(VALU_DEP_2) | instid1(SALU_CYCLE_1)
	v_lshl_add_u64 v[2:3], v[0:1], 2, s[10:11]
	flat_load_b32 v4, v[2:3]
	s_wait_loadcnt_dscnt 0x0
	v_mul_f32_e32 v4, s3, v4
	flat_store_b32 v[2:3], v4
	s_branch .LBB55_2
.LBB55_5:
	s_endpgm
	.section	.rodata,"a",@progbits
	.p2align	6, 0x0
	.amdhsa_kernel _ZL19rocblas_scal_kernelIiLi256EfffPKPfEviT3_lT4_lT_li
		.amdhsa_group_segment_fixed_size 0
		.amdhsa_private_segment_fixed_size 0
		.amdhsa_kernarg_size 52
		.amdhsa_user_sgpr_count 2
		.amdhsa_user_sgpr_dispatch_ptr 0
		.amdhsa_user_sgpr_queue_ptr 0
		.amdhsa_user_sgpr_kernarg_segment_ptr 1
		.amdhsa_user_sgpr_dispatch_id 0
		.amdhsa_user_sgpr_kernarg_preload_length 0
		.amdhsa_user_sgpr_kernarg_preload_offset 0
		.amdhsa_user_sgpr_private_segment_size 0
		.amdhsa_wavefront_size32 1
		.amdhsa_uses_dynamic_stack 0
		.amdhsa_enable_private_segment 0
		.amdhsa_system_sgpr_workgroup_id_x 1
		.amdhsa_system_sgpr_workgroup_id_y 0
		.amdhsa_system_sgpr_workgroup_id_z 1
		.amdhsa_system_sgpr_workgroup_info 0
		.amdhsa_system_vgpr_workitem_id 0
		.amdhsa_next_free_vgpr 5
		.amdhsa_next_free_sgpr 12
		.amdhsa_named_barrier_count 0
		.amdhsa_reserve_vcc 1
		.amdhsa_float_round_mode_32 0
		.amdhsa_float_round_mode_16_64 0
		.amdhsa_float_denorm_mode_32 3
		.amdhsa_float_denorm_mode_16_64 3
		.amdhsa_fp16_overflow 0
		.amdhsa_memory_ordered 1
		.amdhsa_forward_progress 1
		.amdhsa_inst_pref_size 3
		.amdhsa_round_robin_scheduling 0
		.amdhsa_exception_fp_ieee_invalid_op 0
		.amdhsa_exception_fp_denorm_src 0
		.amdhsa_exception_fp_ieee_div_zero 0
		.amdhsa_exception_fp_ieee_overflow 0
		.amdhsa_exception_fp_ieee_underflow 0
		.amdhsa_exception_fp_ieee_inexact 0
		.amdhsa_exception_int_div_zero 0
	.end_amdhsa_kernel
	.section	.text._ZL19rocblas_scal_kernelIiLi256EfffPKPfEviT3_lT4_lT_li,"axG",@progbits,_ZL19rocblas_scal_kernelIiLi256EfffPKPfEviT3_lT4_lT_li,comdat
.Lfunc_end55:
	.size	_ZL19rocblas_scal_kernelIiLi256EfffPKPfEviT3_lT4_lT_li, .Lfunc_end55-_ZL19rocblas_scal_kernelIiLi256EfffPKPfEviT3_lT4_lT_li
                                        ; -- End function
	.set _ZL19rocblas_scal_kernelIiLi256EfffPKPfEviT3_lT4_lT_li.num_vgpr, 5
	.set _ZL19rocblas_scal_kernelIiLi256EfffPKPfEviT3_lT4_lT_li.num_agpr, 0
	.set _ZL19rocblas_scal_kernelIiLi256EfffPKPfEviT3_lT4_lT_li.numbered_sgpr, 12
	.set _ZL19rocblas_scal_kernelIiLi256EfffPKPfEviT3_lT4_lT_li.num_named_barrier, 0
	.set _ZL19rocblas_scal_kernelIiLi256EfffPKPfEviT3_lT4_lT_li.private_seg_size, 0
	.set _ZL19rocblas_scal_kernelIiLi256EfffPKPfEviT3_lT4_lT_li.uses_vcc, 1
	.set _ZL19rocblas_scal_kernelIiLi256EfffPKPfEviT3_lT4_lT_li.uses_flat_scratch, 0
	.set _ZL19rocblas_scal_kernelIiLi256EfffPKPfEviT3_lT4_lT_li.has_dyn_sized_stack, 0
	.set _ZL19rocblas_scal_kernelIiLi256EfffPKPfEviT3_lT4_lT_li.has_recursion, 0
	.set _ZL19rocblas_scal_kernelIiLi256EfffPKPfEviT3_lT4_lT_li.has_indirect_call, 0
	.section	.AMDGPU.csdata,"",@progbits
; Kernel info:
; codeLenInByte = 292
; TotalNumSgprs: 14
; NumVgprs: 5
; ScratchSize: 0
; MemoryBound: 0
; FloatMode: 240
; IeeeMode: 1
; LDSByteSize: 0 bytes/workgroup (compile time only)
; SGPRBlocks: 0
; VGPRBlocks: 0
; NumSGPRsForWavesPerEU: 14
; NumVGPRsForWavesPerEU: 5
; NamedBarCnt: 0
; Occupancy: 16
; WaveLimiterHint : 1
; COMPUTE_PGM_RSRC2:SCRATCH_EN: 0
; COMPUTE_PGM_RSRC2:USER_SGPR: 2
; COMPUTE_PGM_RSRC2:TRAP_HANDLER: 0
; COMPUTE_PGM_RSRC2:TGID_X_EN: 1
; COMPUTE_PGM_RSRC2:TGID_Y_EN: 0
; COMPUTE_PGM_RSRC2:TGID_Z_EN: 1
; COMPUTE_PGM_RSRC2:TIDIG_COMP_CNT: 0
	.section	.text._ZL19rocblas_scal_kernelIlLi256EffPKfPKPfEviT3_lT4_lT_li,"axG",@progbits,_ZL19rocblas_scal_kernelIlLi256EffPKfPKPfEviT3_lT4_lT_li,comdat
	.globl	_ZL19rocblas_scal_kernelIlLi256EffPKfPKPfEviT3_lT4_lT_li ; -- Begin function _ZL19rocblas_scal_kernelIlLi256EffPKfPKPfEviT3_lT4_lT_li
	.p2align	8
	.type	_ZL19rocblas_scal_kernelIlLi256EffPKfPKPfEviT3_lT4_lT_li,@function
_ZL19rocblas_scal_kernelIlLi256EffPKfPKPfEviT3_lT4_lT_li: ; @_ZL19rocblas_scal_kernelIlLi256EffPKfPKPfEviT3_lT4_lT_li
; %bb.0:
	s_load_b32 s12, s[0:1], 0x38
	s_bfe_u32 s2, ttmp6, 0x40014
	s_lshr_b32 s3, ttmp7, 16
	s_add_co_i32 s2, s2, 1
	s_bfe_u32 s5, ttmp6, 0x40008
	s_mul_i32 s2, s3, s2
	s_getreg_b32 s4, hwreg(HW_REG_IB_STS2, 6, 4)
	s_add_co_i32 s5, s5, s2
	s_cmp_eq_u32 s4, 0
	s_cselect_b32 s2, s3, s5
	s_mov_b32 s3, 0
	s_wait_kmcnt 0x0
	s_cmp_ge_u32 s2, s12
	s_cbranch_scc1 .LBB56_5
; %bb.1:
	s_load_b64 s[6:7], s[0:1], 0x28
	s_bfe_u32 s5, ttmp6, 0x4000c
	s_and_b32 s8, ttmp6, 15
	s_add_co_i32 s5, s5, 1
	v_mov_b32_e32 v1, 0
	s_mul_i32 s5, ttmp9, s5
	s_delay_alu instid0(SALU_CYCLE_1) | instskip(SKIP_2) | instid1(SALU_CYCLE_1)
	s_add_co_i32 s8, s8, s5
	s_cmp_eq_u32 s4, 0
	s_cselect_b32 s4, ttmp9, s8
	v_lshl_or_b32 v0, s4, 8, v0
	s_wait_kmcnt 0x0
	s_delay_alu instid0(VALU_DEP_1)
	v_mul_u64_e32 v[2:3], s[6:7], v[0:1]
	s_clause 0x1
	s_load_b32 s13, s[0:1], 0x0
	s_load_b256 s[4:11], s[0:1], 0x8
	s_wait_kmcnt 0x0
	v_cmp_gt_u32_e32 vcc_lo, s13, v0
	s_lshl_b64 s[0:1], s[10:11], 2
	s_branch .LBB56_3
.LBB56_2:                               ;   in Loop: Header=BB56_3 Depth=1
	s_wait_xcnt 0x0
	s_or_b32 exec_lo, exec_lo, s10
	s_add_co_i32 s2, s2, 0x10000
	s_delay_alu instid0(SALU_CYCLE_1)
	s_cmp_lt_u32 s2, s12
	s_cbranch_scc0 .LBB56_5
.LBB56_3:                               ; =>This Inner Loop Header: Depth=1
	s_mul_u64 s[10:11], s[6:7], s[2:3]
	s_delay_alu instid0(SALU_CYCLE_1) | instskip(NEXT) | instid1(SALU_CYCLE_1)
	s_lshl_b64 s[10:11], s[10:11], 2
	s_add_nc_u64 s[10:11], s[4:5], s[10:11]
	global_load_b32 v0, v1, s[10:11]
	s_wait_loadcnt 0x0
	s_wait_xcnt 0x0
	v_readfirstlane_b32 s10, v0
	s_cmp_neq_f32 s10, 1.0
	s_cselect_b32 s10, -1, 0
	s_delay_alu instid0(SALU_CYCLE_1) | instskip(NEXT) | instid1(SALU_CYCLE_1)
	s_and_b32 s11, vcc_lo, s10
	s_and_saveexec_b32 s10, s11
	s_cbranch_execz .LBB56_2
; %bb.4:                                ;   in Loop: Header=BB56_3 Depth=1
	s_lshl_b64 s[14:15], s[2:3], 3
	s_delay_alu instid0(SALU_CYCLE_1) | instskip(SKIP_4) | instid1(SALU_CYCLE_1)
	s_add_nc_u64 s[14:15], s[8:9], s[14:15]
	s_load_b64 s[14:15], s[14:15], 0x0
	s_wait_kmcnt 0x0
	s_wait_xcnt 0x0
	s_add_nc_u64 s[14:15], s[14:15], s[0:1]
	v_lshl_add_u64 v[4:5], v[2:3], 2, s[14:15]
	flat_load_b32 v6, v[4:5]
	s_wait_loadcnt_dscnt 0x0
	v_mul_f32_e32 v0, v0, v6
	flat_store_b32 v[4:5], v0
	s_branch .LBB56_2
.LBB56_5:
	s_endpgm
	.section	.rodata,"a",@progbits
	.p2align	6, 0x0
	.amdhsa_kernel _ZL19rocblas_scal_kernelIlLi256EffPKfPKPfEviT3_lT4_lT_li
		.amdhsa_group_segment_fixed_size 0
		.amdhsa_private_segment_fixed_size 0
		.amdhsa_kernarg_size 60
		.amdhsa_user_sgpr_count 2
		.amdhsa_user_sgpr_dispatch_ptr 0
		.amdhsa_user_sgpr_queue_ptr 0
		.amdhsa_user_sgpr_kernarg_segment_ptr 1
		.amdhsa_user_sgpr_dispatch_id 0
		.amdhsa_user_sgpr_kernarg_preload_length 0
		.amdhsa_user_sgpr_kernarg_preload_offset 0
		.amdhsa_user_sgpr_private_segment_size 0
		.amdhsa_wavefront_size32 1
		.amdhsa_uses_dynamic_stack 0
		.amdhsa_enable_private_segment 0
		.amdhsa_system_sgpr_workgroup_id_x 1
		.amdhsa_system_sgpr_workgroup_id_y 0
		.amdhsa_system_sgpr_workgroup_id_z 1
		.amdhsa_system_sgpr_workgroup_info 0
		.amdhsa_system_vgpr_workitem_id 0
		.amdhsa_next_free_vgpr 7
		.amdhsa_next_free_sgpr 16
		.amdhsa_named_barrier_count 0
		.amdhsa_reserve_vcc 1
		.amdhsa_float_round_mode_32 0
		.amdhsa_float_round_mode_16_64 0
		.amdhsa_float_denorm_mode_32 3
		.amdhsa_float_denorm_mode_16_64 3
		.amdhsa_fp16_overflow 0
		.amdhsa_memory_ordered 1
		.amdhsa_forward_progress 1
		.amdhsa_inst_pref_size 3
		.amdhsa_round_robin_scheduling 0
		.amdhsa_exception_fp_ieee_invalid_op 0
		.amdhsa_exception_fp_denorm_src 0
		.amdhsa_exception_fp_ieee_div_zero 0
		.amdhsa_exception_fp_ieee_overflow 0
		.amdhsa_exception_fp_ieee_underflow 0
		.amdhsa_exception_fp_ieee_inexact 0
		.amdhsa_exception_int_div_zero 0
	.end_amdhsa_kernel
	.section	.text._ZL19rocblas_scal_kernelIlLi256EffPKfPKPfEviT3_lT4_lT_li,"axG",@progbits,_ZL19rocblas_scal_kernelIlLi256EffPKfPKPfEviT3_lT4_lT_li,comdat
.Lfunc_end56:
	.size	_ZL19rocblas_scal_kernelIlLi256EffPKfPKPfEviT3_lT4_lT_li, .Lfunc_end56-_ZL19rocblas_scal_kernelIlLi256EffPKfPKPfEviT3_lT4_lT_li
                                        ; -- End function
	.set _ZL19rocblas_scal_kernelIlLi256EffPKfPKPfEviT3_lT4_lT_li.num_vgpr, 7
	.set _ZL19rocblas_scal_kernelIlLi256EffPKfPKPfEviT3_lT4_lT_li.num_agpr, 0
	.set _ZL19rocblas_scal_kernelIlLi256EffPKfPKPfEviT3_lT4_lT_li.numbered_sgpr, 16
	.set _ZL19rocblas_scal_kernelIlLi256EffPKfPKPfEviT3_lT4_lT_li.num_named_barrier, 0
	.set _ZL19rocblas_scal_kernelIlLi256EffPKfPKPfEviT3_lT4_lT_li.private_seg_size, 0
	.set _ZL19rocblas_scal_kernelIlLi256EffPKfPKPfEviT3_lT4_lT_li.uses_vcc, 1
	.set _ZL19rocblas_scal_kernelIlLi256EffPKfPKPfEviT3_lT4_lT_li.uses_flat_scratch, 0
	.set _ZL19rocblas_scal_kernelIlLi256EffPKfPKPfEviT3_lT4_lT_li.has_dyn_sized_stack, 0
	.set _ZL19rocblas_scal_kernelIlLi256EffPKfPKPfEviT3_lT4_lT_li.has_recursion, 0
	.set _ZL19rocblas_scal_kernelIlLi256EffPKfPKPfEviT3_lT4_lT_li.has_indirect_call, 0
	.section	.AMDGPU.csdata,"",@progbits
; Kernel info:
; codeLenInByte = 344
; TotalNumSgprs: 18
; NumVgprs: 7
; ScratchSize: 0
; MemoryBound: 0
; FloatMode: 240
; IeeeMode: 1
; LDSByteSize: 0 bytes/workgroup (compile time only)
; SGPRBlocks: 0
; VGPRBlocks: 0
; NumSGPRsForWavesPerEU: 18
; NumVGPRsForWavesPerEU: 7
; NamedBarCnt: 0
; Occupancy: 16
; WaveLimiterHint : 1
; COMPUTE_PGM_RSRC2:SCRATCH_EN: 0
; COMPUTE_PGM_RSRC2:USER_SGPR: 2
; COMPUTE_PGM_RSRC2:TRAP_HANDLER: 0
; COMPUTE_PGM_RSRC2:TGID_X_EN: 1
; COMPUTE_PGM_RSRC2:TGID_Y_EN: 0
; COMPUTE_PGM_RSRC2:TGID_Z_EN: 1
; COMPUTE_PGM_RSRC2:TIDIG_COMP_CNT: 0
	.section	.text._ZL19rocblas_scal_kernelIlLi256EfffPKPfEviT3_lT4_lT_li,"axG",@progbits,_ZL19rocblas_scal_kernelIlLi256EfffPKPfEviT3_lT4_lT_li,comdat
	.globl	_ZL19rocblas_scal_kernelIlLi256EfffPKPfEviT3_lT4_lT_li ; -- Begin function _ZL19rocblas_scal_kernelIlLi256EfffPKPfEviT3_lT4_lT_li
	.p2align	8
	.type	_ZL19rocblas_scal_kernelIlLi256EfffPKPfEviT3_lT4_lT_li,@function
_ZL19rocblas_scal_kernelIlLi256EfffPKPfEviT3_lT4_lT_li: ; @_ZL19rocblas_scal_kernelIlLi256EfffPKPfEviT3_lT4_lT_li
; %bb.0:
	s_load_b32 s8, s[0:1], 0x30
	s_bfe_u32 s2, ttmp6, 0x40014
	s_lshr_b32 s3, ttmp7, 16
	s_add_co_i32 s2, s2, 1
	s_bfe_u32 s5, ttmp6, 0x40008
	s_mul_i32 s4, s3, s2
	s_getreg_b32 s2, hwreg(HW_REG_IB_STS2, 6, 4)
	s_add_co_i32 s5, s5, s4
	s_cmp_eq_u32 s2, 0
	s_cselect_b32 s9, s3, s5
	s_wait_kmcnt 0x0
	s_cmp_ge_u32 s9, s8
	s_cbranch_scc1 .LBB57_5
; %bb.1:
	s_load_b64 s[4:5], s[0:1], 0x20
	s_bfe_u32 s3, ttmp6, 0x4000c
	s_and_b32 s6, ttmp6, 15
	s_add_co_i32 s3, s3, 1
	v_mov_b32_e32 v3, 0
	s_mul_i32 s3, ttmp9, s3
	s_delay_alu instid0(SALU_CYCLE_1) | instskip(SKIP_2) | instid1(SALU_CYCLE_1)
	s_add_co_i32 s6, s6, s3
	s_cmp_eq_u32 s2, 0
	s_cselect_b32 s2, ttmp9, s6
	v_lshl_or_b32 v2, s2, 8, v0
	s_wait_kmcnt 0x0
	s_delay_alu instid0(VALU_DEP_1)
	v_mul_u64_e32 v[0:1], s[4:5], v[2:3]
	s_clause 0x1
	s_load_b64 s[2:3], s[0:1], 0x0
	s_load_b128 s[4:7], s[0:1], 0x10
	s_wait_kmcnt 0x0
	s_cmp_neq_f32 s3, 1.0
	v_cmp_gt_u32_e32 vcc_lo, s2, v2
	s_cselect_b32 s0, -1, 0
	s_delay_alu instid0(SALU_CYCLE_1)
	s_and_b32 s2, vcc_lo, s0
	s_lshl_b64 s[0:1], s[6:7], 2
	s_branch .LBB57_3
.LBB57_2:                               ;   in Loop: Header=BB57_3 Depth=1
	s_wait_xcnt 0x0
	s_or_b32 exec_lo, exec_lo, s6
	s_add_co_i32 s9, s9, 0x10000
	s_delay_alu instid0(SALU_CYCLE_1)
	s_cmp_lt_u32 s9, s8
	s_cbranch_scc0 .LBB57_5
.LBB57_3:                               ; =>This Inner Loop Header: Depth=1
	s_and_saveexec_b32 s6, s2
	s_cbranch_execz .LBB57_2
; %bb.4:                                ;   in Loop: Header=BB57_3 Depth=1
	s_load_b64 s[10:11], s[4:5], s9 offset:0x0 scale_offset
	s_wait_kmcnt 0x0
	s_add_nc_u64 s[10:11], s[10:11], s[0:1]
	s_delay_alu instid0(VALU_DEP_2) | instid1(SALU_CYCLE_1)
	v_lshl_add_u64 v[2:3], v[0:1], 2, s[10:11]
	flat_load_b32 v4, v[2:3]
	s_wait_loadcnt_dscnt 0x0
	v_mul_f32_e32 v4, s3, v4
	flat_store_b32 v[2:3], v4
	s_branch .LBB57_2
.LBB57_5:
	s_endpgm
	.section	.rodata,"a",@progbits
	.p2align	6, 0x0
	.amdhsa_kernel _ZL19rocblas_scal_kernelIlLi256EfffPKPfEviT3_lT4_lT_li
		.amdhsa_group_segment_fixed_size 0
		.amdhsa_private_segment_fixed_size 0
		.amdhsa_kernarg_size 52
		.amdhsa_user_sgpr_count 2
		.amdhsa_user_sgpr_dispatch_ptr 0
		.amdhsa_user_sgpr_queue_ptr 0
		.amdhsa_user_sgpr_kernarg_segment_ptr 1
		.amdhsa_user_sgpr_dispatch_id 0
		.amdhsa_user_sgpr_kernarg_preload_length 0
		.amdhsa_user_sgpr_kernarg_preload_offset 0
		.amdhsa_user_sgpr_private_segment_size 0
		.amdhsa_wavefront_size32 1
		.amdhsa_uses_dynamic_stack 0
		.amdhsa_enable_private_segment 0
		.amdhsa_system_sgpr_workgroup_id_x 1
		.amdhsa_system_sgpr_workgroup_id_y 0
		.amdhsa_system_sgpr_workgroup_id_z 1
		.amdhsa_system_sgpr_workgroup_info 0
		.amdhsa_system_vgpr_workitem_id 0
		.amdhsa_next_free_vgpr 5
		.amdhsa_next_free_sgpr 12
		.amdhsa_named_barrier_count 0
		.amdhsa_reserve_vcc 1
		.amdhsa_float_round_mode_32 0
		.amdhsa_float_round_mode_16_64 0
		.amdhsa_float_denorm_mode_32 3
		.amdhsa_float_denorm_mode_16_64 3
		.amdhsa_fp16_overflow 0
		.amdhsa_memory_ordered 1
		.amdhsa_forward_progress 1
		.amdhsa_inst_pref_size 3
		.amdhsa_round_robin_scheduling 0
		.amdhsa_exception_fp_ieee_invalid_op 0
		.amdhsa_exception_fp_denorm_src 0
		.amdhsa_exception_fp_ieee_div_zero 0
		.amdhsa_exception_fp_ieee_overflow 0
		.amdhsa_exception_fp_ieee_underflow 0
		.amdhsa_exception_fp_ieee_inexact 0
		.amdhsa_exception_int_div_zero 0
	.end_amdhsa_kernel
	.section	.text._ZL19rocblas_scal_kernelIlLi256EfffPKPfEviT3_lT4_lT_li,"axG",@progbits,_ZL19rocblas_scal_kernelIlLi256EfffPKPfEviT3_lT4_lT_li,comdat
.Lfunc_end57:
	.size	_ZL19rocblas_scal_kernelIlLi256EfffPKPfEviT3_lT4_lT_li, .Lfunc_end57-_ZL19rocblas_scal_kernelIlLi256EfffPKPfEviT3_lT4_lT_li
                                        ; -- End function
	.set _ZL19rocblas_scal_kernelIlLi256EfffPKPfEviT3_lT4_lT_li.num_vgpr, 5
	.set _ZL19rocblas_scal_kernelIlLi256EfffPKPfEviT3_lT4_lT_li.num_agpr, 0
	.set _ZL19rocblas_scal_kernelIlLi256EfffPKPfEviT3_lT4_lT_li.numbered_sgpr, 12
	.set _ZL19rocblas_scal_kernelIlLi256EfffPKPfEviT3_lT4_lT_li.num_named_barrier, 0
	.set _ZL19rocblas_scal_kernelIlLi256EfffPKPfEviT3_lT4_lT_li.private_seg_size, 0
	.set _ZL19rocblas_scal_kernelIlLi256EfffPKPfEviT3_lT4_lT_li.uses_vcc, 1
	.set _ZL19rocblas_scal_kernelIlLi256EfffPKPfEviT3_lT4_lT_li.uses_flat_scratch, 0
	.set _ZL19rocblas_scal_kernelIlLi256EfffPKPfEviT3_lT4_lT_li.has_dyn_sized_stack, 0
	.set _ZL19rocblas_scal_kernelIlLi256EfffPKPfEviT3_lT4_lT_li.has_recursion, 0
	.set _ZL19rocblas_scal_kernelIlLi256EfffPKPfEviT3_lT4_lT_li.has_indirect_call, 0
	.section	.AMDGPU.csdata,"",@progbits
; Kernel info:
; codeLenInByte = 288
; TotalNumSgprs: 14
; NumVgprs: 5
; ScratchSize: 0
; MemoryBound: 0
; FloatMode: 240
; IeeeMode: 1
; LDSByteSize: 0 bytes/workgroup (compile time only)
; SGPRBlocks: 0
; VGPRBlocks: 0
; NumSGPRsForWavesPerEU: 14
; NumVGPRsForWavesPerEU: 5
; NamedBarCnt: 0
; Occupancy: 16
; WaveLimiterHint : 1
; COMPUTE_PGM_RSRC2:SCRATCH_EN: 0
; COMPUTE_PGM_RSRC2:USER_SGPR: 2
; COMPUTE_PGM_RSRC2:TRAP_HANDLER: 0
; COMPUTE_PGM_RSRC2:TGID_X_EN: 1
; COMPUTE_PGM_RSRC2:TGID_Y_EN: 0
; COMPUTE_PGM_RSRC2:TGID_Z_EN: 1
; COMPUTE_PGM_RSRC2:TIDIG_COMP_CNT: 0
	.section	.text._ZL22rocblas_sscal_2_kernelILi256E19rocblas_complex_numIdES1_PKS1_PKPS1_EviT2_lT3_lli,"axG",@progbits,_ZL22rocblas_sscal_2_kernelILi256E19rocblas_complex_numIdES1_PKS1_PKPS1_EviT2_lT3_lli,comdat
	.globl	_ZL22rocblas_sscal_2_kernelILi256E19rocblas_complex_numIdES1_PKS1_PKPS1_EviT2_lT3_lli ; -- Begin function _ZL22rocblas_sscal_2_kernelILi256E19rocblas_complex_numIdES1_PKS1_PKPS1_EviT2_lT3_lli
	.p2align	8
	.type	_ZL22rocblas_sscal_2_kernelILi256E19rocblas_complex_numIdES1_PKS1_PKPS1_EviT2_lT3_lli,@function
_ZL22rocblas_sscal_2_kernelILi256E19rocblas_complex_numIdES1_PKS1_PKPS1_EviT2_lT3_lli: ; @_ZL22rocblas_sscal_2_kernelILi256E19rocblas_complex_numIdES1_PKS1_PKPS1_EviT2_lT3_lli
; %bb.0:
	s_load_b32 s12, s[0:1], 0x30
	s_bfe_u32 s2, ttmp6, 0x40014
	s_lshr_b32 s3, ttmp7, 16
	s_add_co_i32 s2, s2, 1
	s_bfe_u32 s4, ttmp6, 0x40008
	s_mul_i32 s2, s3, s2
	s_getreg_b32 s13, hwreg(HW_REG_IB_STS2, 6, 4)
	s_add_co_i32 s4, s4, s2
	s_cmp_eq_u32 s13, 0
	s_cselect_b32 s2, s3, s4
	s_mov_b32 s3, 0
	s_wait_kmcnt 0x0
	s_cmp_ge_u32 s2, s12
	s_cbranch_scc1 .LBB58_9
; %bb.1:
	s_load_b32 s14, s[0:1], 0x0
	s_bfe_u32 s15, ttmp6, 0x4000c
	s_load_b256 s[4:11], s[0:1], 0x8
	s_add_co_i32 s15, s15, 1
	s_wait_xcnt 0x0
	s_and_b32 s0, ttmp6, 15
	s_mul_i32 s1, ttmp9, s15
	v_dual_mov_b32 v5, 0 :: v_dual_lshlrev_b32 v0, 1, v0
	s_add_co_i32 s0, s0, s1
	s_cmp_eq_u32 s13, 0
	s_cselect_b32 s0, ttmp9, s0
	s_delay_alu instid0(VALU_DEP_1) | instid1(SALU_CYCLE_1)
	v_lshl_or_b32 v4, s0, 9, v0
	s_delay_alu instid0(VALU_DEP_1)
	v_or_b32_e32 v0, 1, v4
	s_wait_kmcnt 0x0
	s_bitcmp1_b32 s14, 0
	s_cselect_b32 s1, -1, 0
	s_add_co_i32 s0, s14, -1
	s_lshl_b64 s[10:11], s[10:11], 4
	v_cmp_eq_u32_e32 vcc_lo, s0, v4
	v_cmp_gt_u32_e64 s0, s14, v0
	s_and_b32 s13, s1, vcc_lo
	s_branch .LBB58_4
.LBB58_2:                               ;   in Loop: Header=BB58_4 Depth=1
	s_wait_xcnt 0x0
	s_or_b32 exec_lo, exec_lo, s1
.LBB58_3:                               ;   in Loop: Header=BB58_4 Depth=1
	s_add_co_i32 s2, s2, 0x10000
	s_delay_alu instid0(SALU_CYCLE_1)
	s_cmp_lt_u32 s2, s12
	s_cbranch_scc0 .LBB58_9
.LBB58_4:                               ; =>This Inner Loop Header: Depth=1
	s_wait_xcnt 0x0
	s_mul_u64 s[14:15], s[6:7], s[2:3]
	s_delay_alu instid0(SALU_CYCLE_1) | instskip(NEXT) | instid1(SALU_CYCLE_1)
	s_lshl_b64 s[14:15], s[14:15], 4
	s_add_nc_u64 s[14:15], s[4:5], s[14:15]
	global_load_b128 v[0:3], v5, s[14:15]
	s_wait_loadcnt 0x0
	v_cmp_neq_f64_e32 vcc_lo, 1.0, v[0:1]
	v_cmp_neq_f64_e64 s1, 0, v[2:3]
	s_or_b32 s1, vcc_lo, s1
	s_delay_alu instid0(SALU_CYCLE_1)
	s_and_not1_b32 vcc_lo, exec_lo, s1
	s_cbranch_vccnz .LBB58_3
; %bb.5:                                ;   in Loop: Header=BB58_4 Depth=1
	s_wait_xcnt 0x0
	s_lshl_b64 s[14:15], s[2:3], 3
	s_delay_alu instid0(SALU_CYCLE_1) | instskip(SKIP_4) | instid1(SALU_CYCLE_1)
	s_add_nc_u64 s[14:15], s[8:9], s[14:15]
	s_load_b64 s[14:15], s[14:15], 0x0
	s_wait_kmcnt 0x0
	s_wait_xcnt 0x0
	s_add_nc_u64 s[14:15], s[14:15], s[10:11]
	v_lshl_add_u64 v[6:7], v[4:5], 4, s[14:15]
	s_and_saveexec_b32 s1, s0
	s_cbranch_execz .LBB58_7
; %bb.6:                                ;   in Loop: Header=BB58_4 Depth=1
	s_clause 0x1
	flat_load_b128 v[8:11], v[6:7]
	flat_load_b128 v[12:15], v[6:7] offset:16
	s_wait_loadcnt_dscnt 0x101
	v_mul_f64_e32 v[18:19], v[2:3], v[10:11]
	v_mul_f64_e32 v[16:17], v[0:1], v[10:11]
	s_wait_loadcnt_dscnt 0x0
	v_mul_f64_e32 v[20:21], v[2:3], v[14:15]
	v_mul_f64_e32 v[10:11], v[0:1], v[14:15]
	s_delay_alu instid0(VALU_DEP_4) | instskip(NEXT) | instid1(VALU_DEP_4)
	v_fma_f64 v[14:15], v[0:1], v[8:9], -v[18:19]
	v_fmac_f64_e32 v[16:17], v[2:3], v[8:9]
	s_delay_alu instid0(VALU_DEP_4) | instskip(NEXT) | instid1(VALU_DEP_4)
	v_fma_f64 v[8:9], v[0:1], v[12:13], -v[20:21]
	v_fmac_f64_e32 v[10:11], v[2:3], v[12:13]
	s_clause 0x1
	flat_store_b128 v[6:7], v[14:17]
	flat_store_b128 v[6:7], v[8:11] offset:16
.LBB58_7:                               ;   in Loop: Header=BB58_4 Depth=1
	s_wait_xcnt 0x0
	s_or_b32 exec_lo, exec_lo, s1
	s_and_saveexec_b32 s1, s13
	s_cbranch_execz .LBB58_2
; %bb.8:                                ;   in Loop: Header=BB58_4 Depth=1
	flat_load_b128 v[8:11], v[6:7]
	s_wait_loadcnt_dscnt 0x0
	v_mul_f64_e32 v[14:15], v[2:3], v[10:11]
	v_mul_f64_e32 v[12:13], v[0:1], v[10:11]
	s_delay_alu instid0(VALU_DEP_2) | instskip(NEXT) | instid1(VALU_DEP_2)
	v_fma_f64 v[10:11], v[0:1], v[8:9], -v[14:15]
	v_fmac_f64_e32 v[12:13], v[2:3], v[8:9]
	flat_store_b128 v[6:7], v[10:13]
	s_branch .LBB58_2
.LBB58_9:
	s_endpgm
	.section	.rodata,"a",@progbits
	.p2align	6, 0x0
	.amdhsa_kernel _ZL22rocblas_sscal_2_kernelILi256E19rocblas_complex_numIdES1_PKS1_PKPS1_EviT2_lT3_lli
		.amdhsa_group_segment_fixed_size 0
		.amdhsa_private_segment_fixed_size 0
		.amdhsa_kernarg_size 52
		.amdhsa_user_sgpr_count 2
		.amdhsa_user_sgpr_dispatch_ptr 0
		.amdhsa_user_sgpr_queue_ptr 0
		.amdhsa_user_sgpr_kernarg_segment_ptr 1
		.amdhsa_user_sgpr_dispatch_id 0
		.amdhsa_user_sgpr_kernarg_preload_length 0
		.amdhsa_user_sgpr_kernarg_preload_offset 0
		.amdhsa_user_sgpr_private_segment_size 0
		.amdhsa_wavefront_size32 1
		.amdhsa_uses_dynamic_stack 0
		.amdhsa_enable_private_segment 0
		.amdhsa_system_sgpr_workgroup_id_x 1
		.amdhsa_system_sgpr_workgroup_id_y 0
		.amdhsa_system_sgpr_workgroup_id_z 1
		.amdhsa_system_sgpr_workgroup_info 0
		.amdhsa_system_vgpr_workitem_id 0
		.amdhsa_next_free_vgpr 22
		.amdhsa_next_free_sgpr 16
		.amdhsa_named_barrier_count 0
		.amdhsa_reserve_vcc 1
		.amdhsa_float_round_mode_32 0
		.amdhsa_float_round_mode_16_64 0
		.amdhsa_float_denorm_mode_32 3
		.amdhsa_float_denorm_mode_16_64 3
		.amdhsa_fp16_overflow 0
		.amdhsa_memory_ordered 1
		.amdhsa_forward_progress 1
		.amdhsa_inst_pref_size 5
		.amdhsa_round_robin_scheduling 0
		.amdhsa_exception_fp_ieee_invalid_op 0
		.amdhsa_exception_fp_denorm_src 0
		.amdhsa_exception_fp_ieee_div_zero 0
		.amdhsa_exception_fp_ieee_overflow 0
		.amdhsa_exception_fp_ieee_underflow 0
		.amdhsa_exception_fp_ieee_inexact 0
		.amdhsa_exception_int_div_zero 0
	.end_amdhsa_kernel
	.section	.text._ZL22rocblas_sscal_2_kernelILi256E19rocblas_complex_numIdES1_PKS1_PKPS1_EviT2_lT3_lli,"axG",@progbits,_ZL22rocblas_sscal_2_kernelILi256E19rocblas_complex_numIdES1_PKS1_PKPS1_EviT2_lT3_lli,comdat
.Lfunc_end58:
	.size	_ZL22rocblas_sscal_2_kernelILi256E19rocblas_complex_numIdES1_PKS1_PKPS1_EviT2_lT3_lli, .Lfunc_end58-_ZL22rocblas_sscal_2_kernelILi256E19rocblas_complex_numIdES1_PKS1_PKPS1_EviT2_lT3_lli
                                        ; -- End function
	.set _ZL22rocblas_sscal_2_kernelILi256E19rocblas_complex_numIdES1_PKS1_PKPS1_EviT2_lT3_lli.num_vgpr, 22
	.set _ZL22rocblas_sscal_2_kernelILi256E19rocblas_complex_numIdES1_PKS1_PKPS1_EviT2_lT3_lli.num_agpr, 0
	.set _ZL22rocblas_sscal_2_kernelILi256E19rocblas_complex_numIdES1_PKS1_PKPS1_EviT2_lT3_lli.numbered_sgpr, 16
	.set _ZL22rocblas_sscal_2_kernelILi256E19rocblas_complex_numIdES1_PKS1_PKPS1_EviT2_lT3_lli.num_named_barrier, 0
	.set _ZL22rocblas_sscal_2_kernelILi256E19rocblas_complex_numIdES1_PKS1_PKPS1_EviT2_lT3_lli.private_seg_size, 0
	.set _ZL22rocblas_sscal_2_kernelILi256E19rocblas_complex_numIdES1_PKS1_PKPS1_EviT2_lT3_lli.uses_vcc, 1
	.set _ZL22rocblas_sscal_2_kernelILi256E19rocblas_complex_numIdES1_PKS1_PKPS1_EviT2_lT3_lli.uses_flat_scratch, 1
	.set _ZL22rocblas_sscal_2_kernelILi256E19rocblas_complex_numIdES1_PKS1_PKPS1_EviT2_lT3_lli.has_dyn_sized_stack, 0
	.set _ZL22rocblas_sscal_2_kernelILi256E19rocblas_complex_numIdES1_PKS1_PKPS1_EviT2_lT3_lli.has_recursion, 0
	.set _ZL22rocblas_sscal_2_kernelILi256E19rocblas_complex_numIdES1_PKS1_PKPS1_EviT2_lT3_lli.has_indirect_call, 0
	.section	.AMDGPU.csdata,"",@progbits
; Kernel info:
; codeLenInByte = 520
; TotalNumSgprs: 18
; NumVgprs: 22
; ScratchSize: 0
; MemoryBound: 0
; FloatMode: 240
; IeeeMode: 1
; LDSByteSize: 0 bytes/workgroup (compile time only)
; SGPRBlocks: 0
; VGPRBlocks: 1
; NumSGPRsForWavesPerEU: 18
; NumVGPRsForWavesPerEU: 22
; NamedBarCnt: 0
; Occupancy: 16
; WaveLimiterHint : 1
; COMPUTE_PGM_RSRC2:SCRATCH_EN: 0
; COMPUTE_PGM_RSRC2:USER_SGPR: 2
; COMPUTE_PGM_RSRC2:TRAP_HANDLER: 0
; COMPUTE_PGM_RSRC2:TGID_X_EN: 1
; COMPUTE_PGM_RSRC2:TGID_Y_EN: 0
; COMPUTE_PGM_RSRC2:TGID_Z_EN: 1
; COMPUTE_PGM_RSRC2:TIDIG_COMP_CNT: 0
	.section	.text._ZL22rocblas_sscal_2_kernelILi256E19rocblas_complex_numIdES1_S1_PKPS1_EviT2_lT3_lli,"axG",@progbits,_ZL22rocblas_sscal_2_kernelILi256E19rocblas_complex_numIdES1_S1_PKPS1_EviT2_lT3_lli,comdat
	.globl	_ZL22rocblas_sscal_2_kernelILi256E19rocblas_complex_numIdES1_S1_PKPS1_EviT2_lT3_lli ; -- Begin function _ZL22rocblas_sscal_2_kernelILi256E19rocblas_complex_numIdES1_S1_PKPS1_EviT2_lT3_lli
	.p2align	8
	.type	_ZL22rocblas_sscal_2_kernelILi256E19rocblas_complex_numIdES1_S1_PKPS1_EviT2_lT3_lli,@function
_ZL22rocblas_sscal_2_kernelILi256E19rocblas_complex_numIdES1_S1_PKPS1_EviT2_lT3_lli: ; @_ZL22rocblas_sscal_2_kernelILi256E19rocblas_complex_numIdES1_S1_PKPS1_EviT2_lT3_lli
; %bb.0:
	s_load_b32 s12, s[0:1], 0x38
	s_bfe_u32 s2, ttmp6, 0x40014
	s_lshr_b32 s3, ttmp7, 16
	s_add_co_i32 s2, s2, 1
	s_bfe_u32 s5, ttmp6, 0x40008
	s_mul_i32 s4, s3, s2
	s_getreg_b32 s2, hwreg(HW_REG_IB_STS2, 6, 4)
	s_add_co_i32 s5, s5, s4
	s_cmp_eq_u32 s2, 0
	s_cselect_b32 s13, s3, s5
	s_wait_kmcnt 0x0
	s_cmp_ge_u32 s13, s12
	s_cbranch_scc1 .LBB59_9
; %bb.1:
	s_clause 0x1
	s_load_b128 s[4:7], s[0:1], 0x8
	s_load_b32 s15, s[0:1], 0x0
	s_bfe_u32 s16, ttmp6, 0x4000c
	s_load_b128 s[8:11], s[0:1], 0x20
	s_add_co_i32 s16, s16, 1
	s_wait_xcnt 0x0
	s_and_b32 s0, ttmp6, 15
	s_mul_i32 s1, ttmp9, s16
	v_dual_mov_b32 v1, 0 :: v_dual_lshlrev_b32 v0, 1, v0
	s_add_co_i32 s0, s0, s1
	s_cmp_eq_u32 s2, 0
	s_cselect_b32 s0, ttmp9, s0
	s_delay_alu instid0(VALU_DEP_1) | instid1(SALU_CYCLE_1)
	v_lshl_or_b32 v0, s0, 9, v0
	s_delay_alu instid0(VALU_DEP_1)
	v_or_b32_e32 v2, 1, v0
	s_wait_kmcnt 0x0
	v_cmp_neq_f64_e64 s3, s[4:5], 1.0
	v_cmp_neq_f64_e64 s14, s[6:7], 0
	s_or_b32 s1, s3, s14
	s_bitcmp1_b32 s15, 0
	s_cselect_b32 s2, -1, 0
	s_add_co_i32 s0, s15, -1
	s_delay_alu instid0(SALU_CYCLE_1)
	v_cmp_eq_u32_e32 vcc_lo, s0, v0
	v_cmp_gt_u32_e64 s0, s15, v2
	s_and_b32 s14, s2, vcc_lo
	s_lshl_b64 s[2:3], s[10:11], 4
	s_branch .LBB59_4
.LBB59_2:                               ;   in Loop: Header=BB59_4 Depth=1
	s_wait_xcnt 0x0
	s_or_b32 exec_lo, exec_lo, s10
.LBB59_3:                               ;   in Loop: Header=BB59_4 Depth=1
	s_add_co_i32 s13, s13, 0x10000
	s_delay_alu instid0(SALU_CYCLE_1)
	s_cmp_lt_u32 s13, s12
	s_cbranch_scc0 .LBB59_9
.LBB59_4:                               ; =>This Inner Loop Header: Depth=1
	s_and_not1_b32 vcc_lo, exec_lo, s1
	s_cbranch_vccnz .LBB59_3
; %bb.5:                                ;   in Loop: Header=BB59_4 Depth=1
	s_load_b64 s[10:11], s[8:9], s13 offset:0x0 scale_offset
	s_wait_kmcnt 0x0
	s_add_nc_u64 s[10:11], s[10:11], s[2:3]
	s_delay_alu instid0(SALU_CYCLE_1)
	v_lshl_add_u64 v[2:3], v[0:1], 4, s[10:11]
	s_and_saveexec_b32 s10, s0
	s_cbranch_execz .LBB59_7
; %bb.6:                                ;   in Loop: Header=BB59_4 Depth=1
	s_clause 0x1
	flat_load_b128 v[4:7], v[2:3]
	flat_load_b128 v[8:11], v[2:3] offset:16
	s_wait_loadcnt_dscnt 0x101
	v_mul_f64_e32 v[14:15], s[6:7], v[6:7]
	v_mul_f64_e32 v[12:13], s[4:5], v[6:7]
	s_wait_loadcnt_dscnt 0x0
	v_mul_f64_e32 v[16:17], s[6:7], v[10:11]
	v_mul_f64_e32 v[6:7], s[4:5], v[10:11]
	s_delay_alu instid0(VALU_DEP_4) | instskip(NEXT) | instid1(VALU_DEP_4)
	v_fma_f64 v[10:11], s[4:5], v[4:5], -v[14:15]
	v_fmac_f64_e32 v[12:13], s[6:7], v[4:5]
	s_delay_alu instid0(VALU_DEP_4) | instskip(NEXT) | instid1(VALU_DEP_4)
	v_fma_f64 v[4:5], s[4:5], v[8:9], -v[16:17]
	v_fmac_f64_e32 v[6:7], s[6:7], v[8:9]
	s_clause 0x1
	flat_store_b128 v[2:3], v[10:13]
	flat_store_b128 v[2:3], v[4:7] offset:16
.LBB59_7:                               ;   in Loop: Header=BB59_4 Depth=1
	s_wait_xcnt 0x0
	s_or_b32 exec_lo, exec_lo, s10
	s_and_saveexec_b32 s10, s14
	s_cbranch_execz .LBB59_2
; %bb.8:                                ;   in Loop: Header=BB59_4 Depth=1
	flat_load_b128 v[4:7], v[2:3]
	s_wait_loadcnt_dscnt 0x0
	v_mul_f64_e32 v[10:11], s[6:7], v[6:7]
	v_mul_f64_e32 v[8:9], s[4:5], v[6:7]
	s_delay_alu instid0(VALU_DEP_2) | instskip(NEXT) | instid1(VALU_DEP_2)
	v_fma_f64 v[6:7], s[4:5], v[4:5], -v[10:11]
	v_fmac_f64_e32 v[8:9], s[6:7], v[4:5]
	flat_store_b128 v[2:3], v[6:9]
	s_branch .LBB59_2
.LBB59_9:
	s_endpgm
	.section	.rodata,"a",@progbits
	.p2align	6, 0x0
	.amdhsa_kernel _ZL22rocblas_sscal_2_kernelILi256E19rocblas_complex_numIdES1_S1_PKPS1_EviT2_lT3_lli
		.amdhsa_group_segment_fixed_size 0
		.amdhsa_private_segment_fixed_size 0
		.amdhsa_kernarg_size 60
		.amdhsa_user_sgpr_count 2
		.amdhsa_user_sgpr_dispatch_ptr 0
		.amdhsa_user_sgpr_queue_ptr 0
		.amdhsa_user_sgpr_kernarg_segment_ptr 1
		.amdhsa_user_sgpr_dispatch_id 0
		.amdhsa_user_sgpr_kernarg_preload_length 0
		.amdhsa_user_sgpr_kernarg_preload_offset 0
		.amdhsa_user_sgpr_private_segment_size 0
		.amdhsa_wavefront_size32 1
		.amdhsa_uses_dynamic_stack 0
		.amdhsa_enable_private_segment 0
		.amdhsa_system_sgpr_workgroup_id_x 1
		.amdhsa_system_sgpr_workgroup_id_y 0
		.amdhsa_system_sgpr_workgroup_id_z 1
		.amdhsa_system_sgpr_workgroup_info 0
		.amdhsa_system_vgpr_workitem_id 0
		.amdhsa_next_free_vgpr 18
		.amdhsa_next_free_sgpr 17
		.amdhsa_named_barrier_count 0
		.amdhsa_reserve_vcc 1
		.amdhsa_float_round_mode_32 0
		.amdhsa_float_round_mode_16_64 0
		.amdhsa_float_denorm_mode_32 3
		.amdhsa_float_denorm_mode_16_64 3
		.amdhsa_fp16_overflow 0
		.amdhsa_memory_ordered 1
		.amdhsa_forward_progress 1
		.amdhsa_inst_pref_size 4
		.amdhsa_round_robin_scheduling 0
		.amdhsa_exception_fp_ieee_invalid_op 0
		.amdhsa_exception_fp_denorm_src 0
		.amdhsa_exception_fp_ieee_div_zero 0
		.amdhsa_exception_fp_ieee_overflow 0
		.amdhsa_exception_fp_ieee_underflow 0
		.amdhsa_exception_fp_ieee_inexact 0
		.amdhsa_exception_int_div_zero 0
	.end_amdhsa_kernel
	.section	.text._ZL22rocblas_sscal_2_kernelILi256E19rocblas_complex_numIdES1_S1_PKPS1_EviT2_lT3_lli,"axG",@progbits,_ZL22rocblas_sscal_2_kernelILi256E19rocblas_complex_numIdES1_S1_PKPS1_EviT2_lT3_lli,comdat
.Lfunc_end59:
	.size	_ZL22rocblas_sscal_2_kernelILi256E19rocblas_complex_numIdES1_S1_PKPS1_EviT2_lT3_lli, .Lfunc_end59-_ZL22rocblas_sscal_2_kernelILi256E19rocblas_complex_numIdES1_S1_PKPS1_EviT2_lT3_lli
                                        ; -- End function
	.set _ZL22rocblas_sscal_2_kernelILi256E19rocblas_complex_numIdES1_S1_PKPS1_EviT2_lT3_lli.num_vgpr, 18
	.set _ZL22rocblas_sscal_2_kernelILi256E19rocblas_complex_numIdES1_S1_PKPS1_EviT2_lT3_lli.num_agpr, 0
	.set _ZL22rocblas_sscal_2_kernelILi256E19rocblas_complex_numIdES1_S1_PKPS1_EviT2_lT3_lli.numbered_sgpr, 17
	.set _ZL22rocblas_sscal_2_kernelILi256E19rocblas_complex_numIdES1_S1_PKPS1_EviT2_lT3_lli.num_named_barrier, 0
	.set _ZL22rocblas_sscal_2_kernelILi256E19rocblas_complex_numIdES1_S1_PKPS1_EviT2_lT3_lli.private_seg_size, 0
	.set _ZL22rocblas_sscal_2_kernelILi256E19rocblas_complex_numIdES1_S1_PKPS1_EviT2_lT3_lli.uses_vcc, 1
	.set _ZL22rocblas_sscal_2_kernelILi256E19rocblas_complex_numIdES1_S1_PKPS1_EviT2_lT3_lli.uses_flat_scratch, 1
	.set _ZL22rocblas_sscal_2_kernelILi256E19rocblas_complex_numIdES1_S1_PKPS1_EviT2_lT3_lli.has_dyn_sized_stack, 0
	.set _ZL22rocblas_sscal_2_kernelILi256E19rocblas_complex_numIdES1_S1_PKPS1_EviT2_lT3_lli.has_recursion, 0
	.set _ZL22rocblas_sscal_2_kernelILi256E19rocblas_complex_numIdES1_S1_PKPS1_EviT2_lT3_lli.has_indirect_call, 0
	.section	.AMDGPU.csdata,"",@progbits
; Kernel info:
; codeLenInByte = 480
; TotalNumSgprs: 19
; NumVgprs: 18
; ScratchSize: 0
; MemoryBound: 0
; FloatMode: 240
; IeeeMode: 1
; LDSByteSize: 0 bytes/workgroup (compile time only)
; SGPRBlocks: 0
; VGPRBlocks: 1
; NumSGPRsForWavesPerEU: 19
; NumVGPRsForWavesPerEU: 18
; NamedBarCnt: 0
; Occupancy: 16
; WaveLimiterHint : 1
; COMPUTE_PGM_RSRC2:SCRATCH_EN: 0
; COMPUTE_PGM_RSRC2:USER_SGPR: 2
; COMPUTE_PGM_RSRC2:TRAP_HANDLER: 0
; COMPUTE_PGM_RSRC2:TGID_X_EN: 1
; COMPUTE_PGM_RSRC2:TGID_Y_EN: 0
; COMPUTE_PGM_RSRC2:TGID_Z_EN: 1
; COMPUTE_PGM_RSRC2:TIDIG_COMP_CNT: 0
	.section	.text._ZL19rocblas_scal_kernelIiLi256E19rocblas_complex_numIdES1_PKS1_PKPS1_EviT3_lT4_lT_li,"axG",@progbits,_ZL19rocblas_scal_kernelIiLi256E19rocblas_complex_numIdES1_PKS1_PKPS1_EviT3_lT4_lT_li,comdat
	.globl	_ZL19rocblas_scal_kernelIiLi256E19rocblas_complex_numIdES1_PKS1_PKPS1_EviT3_lT4_lT_li ; -- Begin function _ZL19rocblas_scal_kernelIiLi256E19rocblas_complex_numIdES1_PKS1_PKPS1_EviT3_lT4_lT_li
	.p2align	8
	.type	_ZL19rocblas_scal_kernelIiLi256E19rocblas_complex_numIdES1_PKS1_PKPS1_EviT3_lT4_lT_li,@function
_ZL19rocblas_scal_kernelIiLi256E19rocblas_complex_numIdES1_PKS1_PKPS1_EviT3_lT4_lT_li: ; @_ZL19rocblas_scal_kernelIiLi256E19rocblas_complex_numIdES1_PKS1_PKPS1_EviT3_lT4_lT_li
; %bb.0:
	s_load_b32 s12, s[0:1], 0x38
	s_bfe_u32 s2, ttmp6, 0x40014
	s_lshr_b32 s3, ttmp7, 16
	s_add_co_i32 s2, s2, 1
	s_bfe_u32 s5, ttmp6, 0x40008
	s_mul_i32 s2, s3, s2
	s_getreg_b32 s4, hwreg(HW_REG_IB_STS2, 6, 4)
	s_add_co_i32 s5, s5, s2
	s_cmp_eq_u32 s4, 0
	s_cselect_b32 s2, s3, s5
	s_mov_b32 s3, 0
	s_wait_kmcnt 0x0
	s_cmp_ge_u32 s2, s12
	s_cbranch_scc1 .LBB60_5
; %bb.1:
	s_load_b32 s6, s[0:1], 0x28
	s_bfe_u32 s5, ttmp6, 0x4000c
	s_and_b32 s7, ttmp6, 15
	s_add_co_i32 s5, s5, 1
	v_mov_b32_e32 v5, 0
	s_mul_i32 s5, ttmp9, s5
	s_delay_alu instid0(SALU_CYCLE_1) | instskip(SKIP_4) | instid1(SALU_CYCLE_1)
	s_add_co_i32 s5, s7, s5
	s_wait_kmcnt 0x0
	s_ashr_i32 s7, s6, 31
	s_cmp_eq_u32 s4, 0
	s_cselect_b32 s4, ttmp9, s5
	v_lshl_or_b32 v4, s4, 8, v0
	s_delay_alu instid0(VALU_DEP_1)
	v_mul_u64_e32 v[6:7], s[6:7], v[4:5]
	s_clause 0x1
	s_load_b32 s13, s[0:1], 0x0
	s_load_b256 s[4:11], s[0:1], 0x8
	s_wait_kmcnt 0x0
	v_cmp_gt_u32_e32 vcc_lo, s13, v4
	s_lshl_b64 s[10:11], s[10:11], 4
	s_branch .LBB60_3
.LBB60_2:                               ;   in Loop: Header=BB60_3 Depth=1
	s_wait_xcnt 0x0
	s_or_b32 exec_lo, exec_lo, s0
	s_add_co_i32 s2, s2, 0x10000
	s_delay_alu instid0(SALU_CYCLE_1)
	s_cmp_lt_u32 s2, s12
	s_cbranch_scc0 .LBB60_5
.LBB60_3:                               ; =>This Inner Loop Header: Depth=1
	s_mul_u64 s[0:1], s[6:7], s[2:3]
	s_delay_alu instid0(SALU_CYCLE_1) | instskip(NEXT) | instid1(SALU_CYCLE_1)
	s_lshl_b64 s[0:1], s[0:1], 4
	s_add_nc_u64 s[0:1], s[4:5], s[0:1]
	global_load_b128 v[0:3], v5, s[0:1]
	s_wait_loadcnt 0x0
	s_wait_xcnt 0x0
	v_cmp_neq_f64_e64 s0, 1.0, v[0:1]
	v_cmp_neq_f64_e64 s1, 0, v[2:3]
	s_or_b32 s0, s0, s1
	s_delay_alu instid0(SALU_CYCLE_1) | instskip(NEXT) | instid1(SALU_CYCLE_1)
	s_and_b32 s1, vcc_lo, s0
	s_and_saveexec_b32 s0, s1
	s_cbranch_execz .LBB60_2
; %bb.4:                                ;   in Loop: Header=BB60_3 Depth=1
	s_lshl_b64 s[14:15], s[2:3], 3
	s_delay_alu instid0(SALU_CYCLE_1) | instskip(SKIP_4) | instid1(SALU_CYCLE_1)
	s_add_nc_u64 s[14:15], s[8:9], s[14:15]
	s_load_b64 s[14:15], s[14:15], 0x0
	s_wait_kmcnt 0x0
	s_wait_xcnt 0x0
	s_add_nc_u64 s[14:15], s[14:15], s[10:11]
	v_lshl_add_u64 v[14:15], v[6:7], 4, s[14:15]
	flat_load_b128 v[8:11], v[14:15]
	s_wait_loadcnt_dscnt 0x0
	v_mul_f64_e32 v[16:17], v[2:3], v[10:11]
	v_mul_f64_e32 v[12:13], v[0:1], v[10:11]
	s_delay_alu instid0(VALU_DEP_2) | instskip(NEXT) | instid1(VALU_DEP_2)
	v_fma_f64 v[10:11], v[0:1], v[8:9], -v[16:17]
	v_fmac_f64_e32 v[12:13], v[2:3], v[8:9]
	flat_store_b128 v[14:15], v[10:13]
	s_branch .LBB60_2
.LBB60_5:
	s_endpgm
	.section	.rodata,"a",@progbits
	.p2align	6, 0x0
	.amdhsa_kernel _ZL19rocblas_scal_kernelIiLi256E19rocblas_complex_numIdES1_PKS1_PKPS1_EviT3_lT4_lT_li
		.amdhsa_group_segment_fixed_size 0
		.amdhsa_private_segment_fixed_size 0
		.amdhsa_kernarg_size 60
		.amdhsa_user_sgpr_count 2
		.amdhsa_user_sgpr_dispatch_ptr 0
		.amdhsa_user_sgpr_queue_ptr 0
		.amdhsa_user_sgpr_kernarg_segment_ptr 1
		.amdhsa_user_sgpr_dispatch_id 0
		.amdhsa_user_sgpr_kernarg_preload_length 0
		.amdhsa_user_sgpr_kernarg_preload_offset 0
		.amdhsa_user_sgpr_private_segment_size 0
		.amdhsa_wavefront_size32 1
		.amdhsa_uses_dynamic_stack 0
		.amdhsa_enable_private_segment 0
		.amdhsa_system_sgpr_workgroup_id_x 1
		.amdhsa_system_sgpr_workgroup_id_y 0
		.amdhsa_system_sgpr_workgroup_id_z 1
		.amdhsa_system_sgpr_workgroup_info 0
		.amdhsa_system_vgpr_workitem_id 0
		.amdhsa_next_free_vgpr 18
		.amdhsa_next_free_sgpr 16
		.amdhsa_named_barrier_count 0
		.amdhsa_reserve_vcc 1
		.amdhsa_float_round_mode_32 0
		.amdhsa_float_round_mode_16_64 0
		.amdhsa_float_denorm_mode_32 3
		.amdhsa_float_denorm_mode_16_64 3
		.amdhsa_fp16_overflow 0
		.amdhsa_memory_ordered 1
		.amdhsa_forward_progress 1
		.amdhsa_inst_pref_size 3
		.amdhsa_round_robin_scheduling 0
		.amdhsa_exception_fp_ieee_invalid_op 0
		.amdhsa_exception_fp_denorm_src 0
		.amdhsa_exception_fp_ieee_div_zero 0
		.amdhsa_exception_fp_ieee_overflow 0
		.amdhsa_exception_fp_ieee_underflow 0
		.amdhsa_exception_fp_ieee_inexact 0
		.amdhsa_exception_int_div_zero 0
	.end_amdhsa_kernel
	.section	.text._ZL19rocblas_scal_kernelIiLi256E19rocblas_complex_numIdES1_PKS1_PKPS1_EviT3_lT4_lT_li,"axG",@progbits,_ZL19rocblas_scal_kernelIiLi256E19rocblas_complex_numIdES1_PKS1_PKPS1_EviT3_lT4_lT_li,comdat
.Lfunc_end60:
	.size	_ZL19rocblas_scal_kernelIiLi256E19rocblas_complex_numIdES1_PKS1_PKPS1_EviT3_lT4_lT_li, .Lfunc_end60-_ZL19rocblas_scal_kernelIiLi256E19rocblas_complex_numIdES1_PKS1_PKPS1_EviT3_lT4_lT_li
                                        ; -- End function
	.set _ZL19rocblas_scal_kernelIiLi256E19rocblas_complex_numIdES1_PKS1_PKPS1_EviT3_lT4_lT_li.num_vgpr, 18
	.set _ZL19rocblas_scal_kernelIiLi256E19rocblas_complex_numIdES1_PKS1_PKPS1_EviT3_lT4_lT_li.num_agpr, 0
	.set _ZL19rocblas_scal_kernelIiLi256E19rocblas_complex_numIdES1_PKS1_PKPS1_EviT3_lT4_lT_li.numbered_sgpr, 16
	.set _ZL19rocblas_scal_kernelIiLi256E19rocblas_complex_numIdES1_PKS1_PKPS1_EviT3_lT4_lT_li.num_named_barrier, 0
	.set _ZL19rocblas_scal_kernelIiLi256E19rocblas_complex_numIdES1_PKS1_PKPS1_EviT3_lT4_lT_li.private_seg_size, 0
	.set _ZL19rocblas_scal_kernelIiLi256E19rocblas_complex_numIdES1_PKS1_PKPS1_EviT3_lT4_lT_li.uses_vcc, 1
	.set _ZL19rocblas_scal_kernelIiLi256E19rocblas_complex_numIdES1_PKS1_PKPS1_EviT3_lT4_lT_li.uses_flat_scratch, 0
	.set _ZL19rocblas_scal_kernelIiLi256E19rocblas_complex_numIdES1_PKS1_PKPS1_EviT3_lT4_lT_li.has_dyn_sized_stack, 0
	.set _ZL19rocblas_scal_kernelIiLi256E19rocblas_complex_numIdES1_PKS1_PKPS1_EviT3_lT4_lT_li.has_recursion, 0
	.set _ZL19rocblas_scal_kernelIiLi256E19rocblas_complex_numIdES1_PKS1_PKPS1_EviT3_lT4_lT_li.has_indirect_call, 0
	.section	.AMDGPU.csdata,"",@progbits
; Kernel info:
; codeLenInByte = 376
; TotalNumSgprs: 18
; NumVgprs: 18
; ScratchSize: 0
; MemoryBound: 0
; FloatMode: 240
; IeeeMode: 1
; LDSByteSize: 0 bytes/workgroup (compile time only)
; SGPRBlocks: 0
; VGPRBlocks: 1
; NumSGPRsForWavesPerEU: 18
; NumVGPRsForWavesPerEU: 18
; NamedBarCnt: 0
; Occupancy: 16
; WaveLimiterHint : 1
; COMPUTE_PGM_RSRC2:SCRATCH_EN: 0
; COMPUTE_PGM_RSRC2:USER_SGPR: 2
; COMPUTE_PGM_RSRC2:TRAP_HANDLER: 0
; COMPUTE_PGM_RSRC2:TGID_X_EN: 1
; COMPUTE_PGM_RSRC2:TGID_Y_EN: 0
; COMPUTE_PGM_RSRC2:TGID_Z_EN: 1
; COMPUTE_PGM_RSRC2:TIDIG_COMP_CNT: 0
	.section	.text._ZL19rocblas_scal_kernelIiLi256E19rocblas_complex_numIdES1_S1_PKPS1_EviT3_lT4_lT_li,"axG",@progbits,_ZL19rocblas_scal_kernelIiLi256E19rocblas_complex_numIdES1_S1_PKPS1_EviT3_lT4_lT_li,comdat
	.globl	_ZL19rocblas_scal_kernelIiLi256E19rocblas_complex_numIdES1_S1_PKPS1_EviT3_lT4_lT_li ; -- Begin function _ZL19rocblas_scal_kernelIiLi256E19rocblas_complex_numIdES1_S1_PKPS1_EviT3_lT4_lT_li
	.p2align	8
	.type	_ZL19rocblas_scal_kernelIiLi256E19rocblas_complex_numIdES1_S1_PKPS1_EviT3_lT4_lT_li,@function
_ZL19rocblas_scal_kernelIiLi256E19rocblas_complex_numIdES1_S1_PKPS1_EviT3_lT4_lT_li: ; @_ZL19rocblas_scal_kernelIiLi256E19rocblas_complex_numIdES1_S1_PKPS1_EviT3_lT4_lT_li
; %bb.0:
	s_load_b32 s2, s[0:1], 0x40
	s_bfe_u32 s3, ttmp6, 0x40014
	s_lshr_b32 s4, ttmp7, 16
	s_add_co_i32 s3, s3, 1
	s_bfe_u32 s5, ttmp6, 0x40008
	s_mul_i32 s3, s4, s3
	s_getreg_b32 s8, hwreg(HW_REG_IB_STS2, 6, 4)
	s_add_co_i32 s5, s5, s3
	s_cmp_eq_u32 s8, 0
	s_cselect_b32 s3, s4, s5
	s_wait_kmcnt 0x0
	s_cmp_ge_u32 s3, s2
	s_cbranch_scc1 .LBB61_5
; %bb.1:
	s_clause 0x1
	s_load_b32 s10, s[0:1], 0x30
	s_load_b128 s[4:7], s[0:1], 0x8
	s_bfe_u32 s9, ttmp6, 0x4000c
	s_and_b32 s11, ttmp6, 15
	s_add_co_i32 s9, s9, 1
	v_mov_b32_e32 v3, 0
	s_mul_i32 s9, ttmp9, s9
	s_delay_alu instid0(SALU_CYCLE_1)
	s_add_co_i32 s9, s11, s9
	s_wait_kmcnt 0x0
	s_ashr_i32 s11, s10, 31
	s_cmp_eq_u32 s8, 0
	v_cmp_neq_f64_e64 s12, s[4:5], 1.0
	s_cselect_b32 s8, ttmp9, s9
	v_cmp_neq_f64_e64 s13, s[6:7], 0
	v_lshl_or_b32 v2, s8, 8, v0
	s_delay_alu instid0(VALU_DEP_1)
	v_mul_u64_e32 v[0:1], s[10:11], v[2:3]
	s_clause 0x1
	s_load_b32 s14, s[0:1], 0x0
	s_load_b128 s[8:11], s[0:1], 0x20
	s_wait_kmcnt 0x0
	v_cmp_gt_u32_e32 vcc_lo, s14, v2
	s_or_b32 s0, s12, s13
	s_delay_alu instid0(SALU_CYCLE_1)
	s_and_b32 s12, vcc_lo, s0
	s_lshl_b64 s[0:1], s[10:11], 4
	s_branch .LBB61_3
.LBB61_2:                               ;   in Loop: Header=BB61_3 Depth=1
	s_wait_xcnt 0x0
	s_or_b32 exec_lo, exec_lo, s10
	s_add_co_i32 s3, s3, 0x10000
	s_delay_alu instid0(SALU_CYCLE_1)
	s_cmp_lt_u32 s3, s2
	s_cbranch_scc0 .LBB61_5
.LBB61_3:                               ; =>This Inner Loop Header: Depth=1
	s_and_saveexec_b32 s10, s12
	s_cbranch_execz .LBB61_2
; %bb.4:                                ;   in Loop: Header=BB61_3 Depth=1
	s_load_b64 s[14:15], s[8:9], s3 offset:0x0 scale_offset
	s_wait_kmcnt 0x0
	s_add_nc_u64 s[14:15], s[14:15], s[0:1]
	s_delay_alu instid0(VALU_DEP_2) | instid1(SALU_CYCLE_1)
	v_lshl_add_u64 v[8:9], v[0:1], 4, s[14:15]
	flat_load_b128 v[2:5], v[8:9]
	s_wait_loadcnt_dscnt 0x0
	v_mul_f64_e32 v[10:11], s[6:7], v[4:5]
	v_mul_f64_e32 v[6:7], s[4:5], v[4:5]
	s_delay_alu instid0(VALU_DEP_2) | instskip(NEXT) | instid1(VALU_DEP_2)
	v_fma_f64 v[4:5], s[4:5], v[2:3], -v[10:11]
	v_fmac_f64_e32 v[6:7], s[6:7], v[2:3]
	flat_store_b128 v[8:9], v[4:7]
	s_branch .LBB61_2
.LBB61_5:
	s_endpgm
	.section	.rodata,"a",@progbits
	.p2align	6, 0x0
	.amdhsa_kernel _ZL19rocblas_scal_kernelIiLi256E19rocblas_complex_numIdES1_S1_PKPS1_EviT3_lT4_lT_li
		.amdhsa_group_segment_fixed_size 0
		.amdhsa_private_segment_fixed_size 0
		.amdhsa_kernarg_size 68
		.amdhsa_user_sgpr_count 2
		.amdhsa_user_sgpr_dispatch_ptr 0
		.amdhsa_user_sgpr_queue_ptr 0
		.amdhsa_user_sgpr_kernarg_segment_ptr 1
		.amdhsa_user_sgpr_dispatch_id 0
		.amdhsa_user_sgpr_kernarg_preload_length 0
		.amdhsa_user_sgpr_kernarg_preload_offset 0
		.amdhsa_user_sgpr_private_segment_size 0
		.amdhsa_wavefront_size32 1
		.amdhsa_uses_dynamic_stack 0
		.amdhsa_enable_private_segment 0
		.amdhsa_system_sgpr_workgroup_id_x 1
		.amdhsa_system_sgpr_workgroup_id_y 0
		.amdhsa_system_sgpr_workgroup_id_z 1
		.amdhsa_system_sgpr_workgroup_info 0
		.amdhsa_system_vgpr_workitem_id 0
		.amdhsa_next_free_vgpr 12
		.amdhsa_next_free_sgpr 16
		.amdhsa_named_barrier_count 0
		.amdhsa_reserve_vcc 1
		.amdhsa_float_round_mode_32 0
		.amdhsa_float_round_mode_16_64 0
		.amdhsa_float_denorm_mode_32 3
		.amdhsa_float_denorm_mode_16_64 3
		.amdhsa_fp16_overflow 0
		.amdhsa_memory_ordered 1
		.amdhsa_forward_progress 1
		.amdhsa_inst_pref_size 3
		.amdhsa_round_robin_scheduling 0
		.amdhsa_exception_fp_ieee_invalid_op 0
		.amdhsa_exception_fp_denorm_src 0
		.amdhsa_exception_fp_ieee_div_zero 0
		.amdhsa_exception_fp_ieee_overflow 0
		.amdhsa_exception_fp_ieee_underflow 0
		.amdhsa_exception_fp_ieee_inexact 0
		.amdhsa_exception_int_div_zero 0
	.end_amdhsa_kernel
	.section	.text._ZL19rocblas_scal_kernelIiLi256E19rocblas_complex_numIdES1_S1_PKPS1_EviT3_lT4_lT_li,"axG",@progbits,_ZL19rocblas_scal_kernelIiLi256E19rocblas_complex_numIdES1_S1_PKPS1_EviT3_lT4_lT_li,comdat
.Lfunc_end61:
	.size	_ZL19rocblas_scal_kernelIiLi256E19rocblas_complex_numIdES1_S1_PKPS1_EviT3_lT4_lT_li, .Lfunc_end61-_ZL19rocblas_scal_kernelIiLi256E19rocblas_complex_numIdES1_S1_PKPS1_EviT3_lT4_lT_li
                                        ; -- End function
	.set _ZL19rocblas_scal_kernelIiLi256E19rocblas_complex_numIdES1_S1_PKPS1_EviT3_lT4_lT_li.num_vgpr, 12
	.set _ZL19rocblas_scal_kernelIiLi256E19rocblas_complex_numIdES1_S1_PKPS1_EviT3_lT4_lT_li.num_agpr, 0
	.set _ZL19rocblas_scal_kernelIiLi256E19rocblas_complex_numIdES1_S1_PKPS1_EviT3_lT4_lT_li.numbered_sgpr, 16
	.set _ZL19rocblas_scal_kernelIiLi256E19rocblas_complex_numIdES1_S1_PKPS1_EviT3_lT4_lT_li.num_named_barrier, 0
	.set _ZL19rocblas_scal_kernelIiLi256E19rocblas_complex_numIdES1_S1_PKPS1_EviT3_lT4_lT_li.private_seg_size, 0
	.set _ZL19rocblas_scal_kernelIiLi256E19rocblas_complex_numIdES1_S1_PKPS1_EviT3_lT4_lT_li.uses_vcc, 1
	.set _ZL19rocblas_scal_kernelIiLi256E19rocblas_complex_numIdES1_S1_PKPS1_EviT3_lT4_lT_li.uses_flat_scratch, 0
	.set _ZL19rocblas_scal_kernelIiLi256E19rocblas_complex_numIdES1_S1_PKPS1_EviT3_lT4_lT_li.has_dyn_sized_stack, 0
	.set _ZL19rocblas_scal_kernelIiLi256E19rocblas_complex_numIdES1_S1_PKPS1_EviT3_lT4_lT_li.has_recursion, 0
	.set _ZL19rocblas_scal_kernelIiLi256E19rocblas_complex_numIdES1_S1_PKPS1_EviT3_lT4_lT_li.has_indirect_call, 0
	.section	.AMDGPU.csdata,"",@progbits
; Kernel info:
; codeLenInByte = 336
; TotalNumSgprs: 18
; NumVgprs: 12
; ScratchSize: 0
; MemoryBound: 0
; FloatMode: 240
; IeeeMode: 1
; LDSByteSize: 0 bytes/workgroup (compile time only)
; SGPRBlocks: 0
; VGPRBlocks: 0
; NumSGPRsForWavesPerEU: 18
; NumVGPRsForWavesPerEU: 12
; NamedBarCnt: 0
; Occupancy: 16
; WaveLimiterHint : 1
; COMPUTE_PGM_RSRC2:SCRATCH_EN: 0
; COMPUTE_PGM_RSRC2:USER_SGPR: 2
; COMPUTE_PGM_RSRC2:TRAP_HANDLER: 0
; COMPUTE_PGM_RSRC2:TGID_X_EN: 1
; COMPUTE_PGM_RSRC2:TGID_Y_EN: 0
; COMPUTE_PGM_RSRC2:TGID_Z_EN: 1
; COMPUTE_PGM_RSRC2:TIDIG_COMP_CNT: 0
	.section	.text._ZL19rocblas_scal_kernelIlLi256E19rocblas_complex_numIdES1_PKS1_PKPS1_EviT3_lT4_lT_li,"axG",@progbits,_ZL19rocblas_scal_kernelIlLi256E19rocblas_complex_numIdES1_PKS1_PKPS1_EviT3_lT4_lT_li,comdat
	.globl	_ZL19rocblas_scal_kernelIlLi256E19rocblas_complex_numIdES1_PKS1_PKPS1_EviT3_lT4_lT_li ; -- Begin function _ZL19rocblas_scal_kernelIlLi256E19rocblas_complex_numIdES1_PKS1_PKPS1_EviT3_lT4_lT_li
	.p2align	8
	.type	_ZL19rocblas_scal_kernelIlLi256E19rocblas_complex_numIdES1_PKS1_PKPS1_EviT3_lT4_lT_li,@function
_ZL19rocblas_scal_kernelIlLi256E19rocblas_complex_numIdES1_PKS1_PKPS1_EviT3_lT4_lT_li: ; @_ZL19rocblas_scal_kernelIlLi256E19rocblas_complex_numIdES1_PKS1_PKPS1_EviT3_lT4_lT_li
; %bb.0:
	s_load_b32 s12, s[0:1], 0x38
	s_bfe_u32 s2, ttmp6, 0x40014
	s_lshr_b32 s3, ttmp7, 16
	s_add_co_i32 s2, s2, 1
	s_bfe_u32 s5, ttmp6, 0x40008
	s_mul_i32 s2, s3, s2
	s_getreg_b32 s4, hwreg(HW_REG_IB_STS2, 6, 4)
	s_add_co_i32 s5, s5, s2
	s_cmp_eq_u32 s4, 0
	s_cselect_b32 s2, s3, s5
	s_mov_b32 s3, 0
	s_wait_kmcnt 0x0
	s_cmp_ge_u32 s2, s12
	s_cbranch_scc1 .LBB62_5
; %bb.1:
	s_load_b64 s[6:7], s[0:1], 0x28
	s_bfe_u32 s5, ttmp6, 0x4000c
	s_and_b32 s8, ttmp6, 15
	s_add_co_i32 s5, s5, 1
	v_mov_b32_e32 v5, 0
	s_mul_i32 s5, ttmp9, s5
	s_delay_alu instid0(SALU_CYCLE_1) | instskip(SKIP_2) | instid1(SALU_CYCLE_1)
	s_add_co_i32 s8, s8, s5
	s_cmp_eq_u32 s4, 0
	s_cselect_b32 s4, ttmp9, s8
	v_lshl_or_b32 v4, s4, 8, v0
	s_wait_kmcnt 0x0
	s_delay_alu instid0(VALU_DEP_1)
	v_mul_u64_e32 v[6:7], s[6:7], v[4:5]
	s_clause 0x1
	s_load_b32 s13, s[0:1], 0x0
	s_load_b256 s[4:11], s[0:1], 0x8
	s_wait_kmcnt 0x0
	v_cmp_gt_u32_e32 vcc_lo, s13, v4
	s_lshl_b64 s[10:11], s[10:11], 4
	s_branch .LBB62_3
.LBB62_2:                               ;   in Loop: Header=BB62_3 Depth=1
	s_wait_xcnt 0x0
	s_or_b32 exec_lo, exec_lo, s0
	s_add_co_i32 s2, s2, 0x10000
	s_delay_alu instid0(SALU_CYCLE_1)
	s_cmp_lt_u32 s2, s12
	s_cbranch_scc0 .LBB62_5
.LBB62_3:                               ; =>This Inner Loop Header: Depth=1
	s_mul_u64 s[0:1], s[6:7], s[2:3]
	s_delay_alu instid0(SALU_CYCLE_1) | instskip(NEXT) | instid1(SALU_CYCLE_1)
	s_lshl_b64 s[0:1], s[0:1], 4
	s_add_nc_u64 s[0:1], s[4:5], s[0:1]
	global_load_b128 v[0:3], v5, s[0:1]
	s_wait_loadcnt 0x0
	s_wait_xcnt 0x0
	v_cmp_neq_f64_e64 s0, 1.0, v[0:1]
	v_cmp_neq_f64_e64 s1, 0, v[2:3]
	s_or_b32 s0, s0, s1
	s_delay_alu instid0(SALU_CYCLE_1) | instskip(NEXT) | instid1(SALU_CYCLE_1)
	s_and_b32 s1, vcc_lo, s0
	s_and_saveexec_b32 s0, s1
	s_cbranch_execz .LBB62_2
; %bb.4:                                ;   in Loop: Header=BB62_3 Depth=1
	s_lshl_b64 s[14:15], s[2:3], 3
	s_delay_alu instid0(SALU_CYCLE_1) | instskip(SKIP_4) | instid1(SALU_CYCLE_1)
	s_add_nc_u64 s[14:15], s[8:9], s[14:15]
	s_load_b64 s[14:15], s[14:15], 0x0
	s_wait_kmcnt 0x0
	s_wait_xcnt 0x0
	s_add_nc_u64 s[14:15], s[14:15], s[10:11]
	v_lshl_add_u64 v[14:15], v[6:7], 4, s[14:15]
	flat_load_b128 v[8:11], v[14:15]
	s_wait_loadcnt_dscnt 0x0
	v_mul_f64_e32 v[16:17], v[2:3], v[10:11]
	v_mul_f64_e32 v[12:13], v[0:1], v[10:11]
	s_delay_alu instid0(VALU_DEP_2) | instskip(NEXT) | instid1(VALU_DEP_2)
	v_fma_f64 v[10:11], v[0:1], v[8:9], -v[16:17]
	v_fmac_f64_e32 v[12:13], v[2:3], v[8:9]
	flat_store_b128 v[14:15], v[10:13]
	s_branch .LBB62_2
.LBB62_5:
	s_endpgm
	.section	.rodata,"a",@progbits
	.p2align	6, 0x0
	.amdhsa_kernel _ZL19rocblas_scal_kernelIlLi256E19rocblas_complex_numIdES1_PKS1_PKPS1_EviT3_lT4_lT_li
		.amdhsa_group_segment_fixed_size 0
		.amdhsa_private_segment_fixed_size 0
		.amdhsa_kernarg_size 60
		.amdhsa_user_sgpr_count 2
		.amdhsa_user_sgpr_dispatch_ptr 0
		.amdhsa_user_sgpr_queue_ptr 0
		.amdhsa_user_sgpr_kernarg_segment_ptr 1
		.amdhsa_user_sgpr_dispatch_id 0
		.amdhsa_user_sgpr_kernarg_preload_length 0
		.amdhsa_user_sgpr_kernarg_preload_offset 0
		.amdhsa_user_sgpr_private_segment_size 0
		.amdhsa_wavefront_size32 1
		.amdhsa_uses_dynamic_stack 0
		.amdhsa_enable_private_segment 0
		.amdhsa_system_sgpr_workgroup_id_x 1
		.amdhsa_system_sgpr_workgroup_id_y 0
		.amdhsa_system_sgpr_workgroup_id_z 1
		.amdhsa_system_sgpr_workgroup_info 0
		.amdhsa_system_vgpr_workitem_id 0
		.amdhsa_next_free_vgpr 18
		.amdhsa_next_free_sgpr 16
		.amdhsa_named_barrier_count 0
		.amdhsa_reserve_vcc 1
		.amdhsa_float_round_mode_32 0
		.amdhsa_float_round_mode_16_64 0
		.amdhsa_float_denorm_mode_32 3
		.amdhsa_float_denorm_mode_16_64 3
		.amdhsa_fp16_overflow 0
		.amdhsa_memory_ordered 1
		.amdhsa_forward_progress 1
		.amdhsa_inst_pref_size 3
		.amdhsa_round_robin_scheduling 0
		.amdhsa_exception_fp_ieee_invalid_op 0
		.amdhsa_exception_fp_denorm_src 0
		.amdhsa_exception_fp_ieee_div_zero 0
		.amdhsa_exception_fp_ieee_overflow 0
		.amdhsa_exception_fp_ieee_underflow 0
		.amdhsa_exception_fp_ieee_inexact 0
		.amdhsa_exception_int_div_zero 0
	.end_amdhsa_kernel
	.section	.text._ZL19rocblas_scal_kernelIlLi256E19rocblas_complex_numIdES1_PKS1_PKPS1_EviT3_lT4_lT_li,"axG",@progbits,_ZL19rocblas_scal_kernelIlLi256E19rocblas_complex_numIdES1_PKS1_PKPS1_EviT3_lT4_lT_li,comdat
.Lfunc_end62:
	.size	_ZL19rocblas_scal_kernelIlLi256E19rocblas_complex_numIdES1_PKS1_PKPS1_EviT3_lT4_lT_li, .Lfunc_end62-_ZL19rocblas_scal_kernelIlLi256E19rocblas_complex_numIdES1_PKS1_PKPS1_EviT3_lT4_lT_li
                                        ; -- End function
	.set _ZL19rocblas_scal_kernelIlLi256E19rocblas_complex_numIdES1_PKS1_PKPS1_EviT3_lT4_lT_li.num_vgpr, 18
	.set _ZL19rocblas_scal_kernelIlLi256E19rocblas_complex_numIdES1_PKS1_PKPS1_EviT3_lT4_lT_li.num_agpr, 0
	.set _ZL19rocblas_scal_kernelIlLi256E19rocblas_complex_numIdES1_PKS1_PKPS1_EviT3_lT4_lT_li.numbered_sgpr, 16
	.set _ZL19rocblas_scal_kernelIlLi256E19rocblas_complex_numIdES1_PKS1_PKPS1_EviT3_lT4_lT_li.num_named_barrier, 0
	.set _ZL19rocblas_scal_kernelIlLi256E19rocblas_complex_numIdES1_PKS1_PKPS1_EviT3_lT4_lT_li.private_seg_size, 0
	.set _ZL19rocblas_scal_kernelIlLi256E19rocblas_complex_numIdES1_PKS1_PKPS1_EviT3_lT4_lT_li.uses_vcc, 1
	.set _ZL19rocblas_scal_kernelIlLi256E19rocblas_complex_numIdES1_PKS1_PKPS1_EviT3_lT4_lT_li.uses_flat_scratch, 0
	.set _ZL19rocblas_scal_kernelIlLi256E19rocblas_complex_numIdES1_PKS1_PKPS1_EviT3_lT4_lT_li.has_dyn_sized_stack, 0
	.set _ZL19rocblas_scal_kernelIlLi256E19rocblas_complex_numIdES1_PKS1_PKPS1_EviT3_lT4_lT_li.has_recursion, 0
	.set _ZL19rocblas_scal_kernelIlLi256E19rocblas_complex_numIdES1_PKS1_PKPS1_EviT3_lT4_lT_li.has_indirect_call, 0
	.section	.AMDGPU.csdata,"",@progbits
; Kernel info:
; codeLenInByte = 372
; TotalNumSgprs: 18
; NumVgprs: 18
; ScratchSize: 0
; MemoryBound: 0
; FloatMode: 240
; IeeeMode: 1
; LDSByteSize: 0 bytes/workgroup (compile time only)
; SGPRBlocks: 0
; VGPRBlocks: 1
; NumSGPRsForWavesPerEU: 18
; NumVGPRsForWavesPerEU: 18
; NamedBarCnt: 0
; Occupancy: 16
; WaveLimiterHint : 1
; COMPUTE_PGM_RSRC2:SCRATCH_EN: 0
; COMPUTE_PGM_RSRC2:USER_SGPR: 2
; COMPUTE_PGM_RSRC2:TRAP_HANDLER: 0
; COMPUTE_PGM_RSRC2:TGID_X_EN: 1
; COMPUTE_PGM_RSRC2:TGID_Y_EN: 0
; COMPUTE_PGM_RSRC2:TGID_Z_EN: 1
; COMPUTE_PGM_RSRC2:TIDIG_COMP_CNT: 0
	.section	.text._ZL19rocblas_scal_kernelIlLi256E19rocblas_complex_numIdES1_S1_PKPS1_EviT3_lT4_lT_li,"axG",@progbits,_ZL19rocblas_scal_kernelIlLi256E19rocblas_complex_numIdES1_S1_PKPS1_EviT3_lT4_lT_li,comdat
	.globl	_ZL19rocblas_scal_kernelIlLi256E19rocblas_complex_numIdES1_S1_PKPS1_EviT3_lT4_lT_li ; -- Begin function _ZL19rocblas_scal_kernelIlLi256E19rocblas_complex_numIdES1_S1_PKPS1_EviT3_lT4_lT_li
	.p2align	8
	.type	_ZL19rocblas_scal_kernelIlLi256E19rocblas_complex_numIdES1_S1_PKPS1_EviT3_lT4_lT_li,@function
_ZL19rocblas_scal_kernelIlLi256E19rocblas_complex_numIdES1_S1_PKPS1_EviT3_lT4_lT_li: ; @_ZL19rocblas_scal_kernelIlLi256E19rocblas_complex_numIdES1_S1_PKPS1_EviT3_lT4_lT_li
; %bb.0:
	s_load_b32 s2, s[0:1], 0x40
	s_bfe_u32 s3, ttmp6, 0x40014
	s_lshr_b32 s4, ttmp7, 16
	s_add_co_i32 s3, s3, 1
	s_bfe_u32 s5, ttmp6, 0x40008
	s_mul_i32 s3, s4, s3
	s_getreg_b32 s8, hwreg(HW_REG_IB_STS2, 6, 4)
	s_add_co_i32 s5, s5, s3
	s_cmp_eq_u32 s8, 0
	s_cselect_b32 s3, s4, s5
	s_wait_kmcnt 0x0
	s_cmp_ge_u32 s3, s2
	s_cbranch_scc1 .LBB63_5
; %bb.1:
	s_clause 0x1
	s_load_b128 s[4:7], s[0:1], 0x8
	s_load_b64 s[10:11], s[0:1], 0x30
	s_bfe_u32 s9, ttmp6, 0x4000c
	s_and_b32 s12, ttmp6, 15
	s_add_co_i32 s9, s9, 1
	v_mov_b32_e32 v3, 0
	s_mul_i32 s9, ttmp9, s9
	s_delay_alu instid0(SALU_CYCLE_1) | instskip(SKIP_2) | instid1(SALU_CYCLE_1)
	s_add_co_i32 s12, s12, s9
	s_cmp_eq_u32 s8, 0
	s_cselect_b32 s8, ttmp9, s12
	v_lshl_or_b32 v2, s8, 8, v0
	s_wait_kmcnt 0x0
	v_cmp_neq_f64_e64 s12, s[4:5], 1.0
	v_cmp_neq_f64_e64 s13, s[6:7], 0
	s_delay_alu instid0(VALU_DEP_3)
	v_mul_u64_e32 v[0:1], s[10:11], v[2:3]
	s_clause 0x1
	s_load_b32 s14, s[0:1], 0x0
	s_load_b128 s[8:11], s[0:1], 0x20
	s_wait_kmcnt 0x0
	v_cmp_gt_u32_e32 vcc_lo, s14, v2
	s_or_b32 s0, s12, s13
	s_delay_alu instid0(SALU_CYCLE_1)
	s_and_b32 s12, vcc_lo, s0
	s_lshl_b64 s[0:1], s[10:11], 4
	s_branch .LBB63_3
.LBB63_2:                               ;   in Loop: Header=BB63_3 Depth=1
	s_wait_xcnt 0x0
	s_or_b32 exec_lo, exec_lo, s10
	s_add_co_i32 s3, s3, 0x10000
	s_delay_alu instid0(SALU_CYCLE_1)
	s_cmp_lt_u32 s3, s2
	s_cbranch_scc0 .LBB63_5
.LBB63_3:                               ; =>This Inner Loop Header: Depth=1
	s_and_saveexec_b32 s10, s12
	s_cbranch_execz .LBB63_2
; %bb.4:                                ;   in Loop: Header=BB63_3 Depth=1
	s_load_b64 s[14:15], s[8:9], s3 offset:0x0 scale_offset
	s_wait_kmcnt 0x0
	s_add_nc_u64 s[14:15], s[14:15], s[0:1]
	s_delay_alu instid0(VALU_DEP_2) | instid1(SALU_CYCLE_1)
	v_lshl_add_u64 v[8:9], v[0:1], 4, s[14:15]
	flat_load_b128 v[2:5], v[8:9]
	s_wait_loadcnt_dscnt 0x0
	v_mul_f64_e32 v[10:11], s[6:7], v[4:5]
	v_mul_f64_e32 v[6:7], s[4:5], v[4:5]
	s_delay_alu instid0(VALU_DEP_2) | instskip(NEXT) | instid1(VALU_DEP_2)
	v_fma_f64 v[4:5], s[4:5], v[2:3], -v[10:11]
	v_fmac_f64_e32 v[6:7], s[6:7], v[2:3]
	flat_store_b128 v[8:9], v[4:7]
	s_branch .LBB63_2
.LBB63_5:
	s_endpgm
	.section	.rodata,"a",@progbits
	.p2align	6, 0x0
	.amdhsa_kernel _ZL19rocblas_scal_kernelIlLi256E19rocblas_complex_numIdES1_S1_PKPS1_EviT3_lT4_lT_li
		.amdhsa_group_segment_fixed_size 0
		.amdhsa_private_segment_fixed_size 0
		.amdhsa_kernarg_size 68
		.amdhsa_user_sgpr_count 2
		.amdhsa_user_sgpr_dispatch_ptr 0
		.amdhsa_user_sgpr_queue_ptr 0
		.amdhsa_user_sgpr_kernarg_segment_ptr 1
		.amdhsa_user_sgpr_dispatch_id 0
		.amdhsa_user_sgpr_kernarg_preload_length 0
		.amdhsa_user_sgpr_kernarg_preload_offset 0
		.amdhsa_user_sgpr_private_segment_size 0
		.amdhsa_wavefront_size32 1
		.amdhsa_uses_dynamic_stack 0
		.amdhsa_enable_private_segment 0
		.amdhsa_system_sgpr_workgroup_id_x 1
		.amdhsa_system_sgpr_workgroup_id_y 0
		.amdhsa_system_sgpr_workgroup_id_z 1
		.amdhsa_system_sgpr_workgroup_info 0
		.amdhsa_system_vgpr_workitem_id 0
		.amdhsa_next_free_vgpr 12
		.amdhsa_next_free_sgpr 16
		.amdhsa_named_barrier_count 0
		.amdhsa_reserve_vcc 1
		.amdhsa_float_round_mode_32 0
		.amdhsa_float_round_mode_16_64 0
		.amdhsa_float_denorm_mode_32 3
		.amdhsa_float_denorm_mode_16_64 3
		.amdhsa_fp16_overflow 0
		.amdhsa_memory_ordered 1
		.amdhsa_forward_progress 1
		.amdhsa_inst_pref_size 3
		.amdhsa_round_robin_scheduling 0
		.amdhsa_exception_fp_ieee_invalid_op 0
		.amdhsa_exception_fp_denorm_src 0
		.amdhsa_exception_fp_ieee_div_zero 0
		.amdhsa_exception_fp_ieee_overflow 0
		.amdhsa_exception_fp_ieee_underflow 0
		.amdhsa_exception_fp_ieee_inexact 0
		.amdhsa_exception_int_div_zero 0
	.end_amdhsa_kernel
	.section	.text._ZL19rocblas_scal_kernelIlLi256E19rocblas_complex_numIdES1_S1_PKPS1_EviT3_lT4_lT_li,"axG",@progbits,_ZL19rocblas_scal_kernelIlLi256E19rocblas_complex_numIdES1_S1_PKPS1_EviT3_lT4_lT_li,comdat
.Lfunc_end63:
	.size	_ZL19rocblas_scal_kernelIlLi256E19rocblas_complex_numIdES1_S1_PKPS1_EviT3_lT4_lT_li, .Lfunc_end63-_ZL19rocblas_scal_kernelIlLi256E19rocblas_complex_numIdES1_S1_PKPS1_EviT3_lT4_lT_li
                                        ; -- End function
	.set _ZL19rocblas_scal_kernelIlLi256E19rocblas_complex_numIdES1_S1_PKPS1_EviT3_lT4_lT_li.num_vgpr, 12
	.set _ZL19rocblas_scal_kernelIlLi256E19rocblas_complex_numIdES1_S1_PKPS1_EviT3_lT4_lT_li.num_agpr, 0
	.set _ZL19rocblas_scal_kernelIlLi256E19rocblas_complex_numIdES1_S1_PKPS1_EviT3_lT4_lT_li.numbered_sgpr, 16
	.set _ZL19rocblas_scal_kernelIlLi256E19rocblas_complex_numIdES1_S1_PKPS1_EviT3_lT4_lT_li.num_named_barrier, 0
	.set _ZL19rocblas_scal_kernelIlLi256E19rocblas_complex_numIdES1_S1_PKPS1_EviT3_lT4_lT_li.private_seg_size, 0
	.set _ZL19rocblas_scal_kernelIlLi256E19rocblas_complex_numIdES1_S1_PKPS1_EviT3_lT4_lT_li.uses_vcc, 1
	.set _ZL19rocblas_scal_kernelIlLi256E19rocblas_complex_numIdES1_S1_PKPS1_EviT3_lT4_lT_li.uses_flat_scratch, 0
	.set _ZL19rocblas_scal_kernelIlLi256E19rocblas_complex_numIdES1_S1_PKPS1_EviT3_lT4_lT_li.has_dyn_sized_stack, 0
	.set _ZL19rocblas_scal_kernelIlLi256E19rocblas_complex_numIdES1_S1_PKPS1_EviT3_lT4_lT_li.has_recursion, 0
	.set _ZL19rocblas_scal_kernelIlLi256E19rocblas_complex_numIdES1_S1_PKPS1_EviT3_lT4_lT_li.has_indirect_call, 0
	.section	.AMDGPU.csdata,"",@progbits
; Kernel info:
; codeLenInByte = 332
; TotalNumSgprs: 18
; NumVgprs: 12
; ScratchSize: 0
; MemoryBound: 0
; FloatMode: 240
; IeeeMode: 1
; LDSByteSize: 0 bytes/workgroup (compile time only)
; SGPRBlocks: 0
; VGPRBlocks: 0
; NumSGPRsForWavesPerEU: 18
; NumVGPRsForWavesPerEU: 12
; NamedBarCnt: 0
; Occupancy: 16
; WaveLimiterHint : 1
; COMPUTE_PGM_RSRC2:SCRATCH_EN: 0
; COMPUTE_PGM_RSRC2:USER_SGPR: 2
; COMPUTE_PGM_RSRC2:TRAP_HANDLER: 0
; COMPUTE_PGM_RSRC2:TGID_X_EN: 1
; COMPUTE_PGM_RSRC2:TGID_Y_EN: 0
; COMPUTE_PGM_RSRC2:TGID_Z_EN: 1
; COMPUTE_PGM_RSRC2:TIDIG_COMP_CNT: 0
	.section	.text._ZL22rocblas_sscal_2_kernelILi256E19rocblas_complex_numIfES1_PKfPKPS1_EviT2_lT3_lli,"axG",@progbits,_ZL22rocblas_sscal_2_kernelILi256E19rocblas_complex_numIfES1_PKfPKPS1_EviT2_lT3_lli,comdat
	.globl	_ZL22rocblas_sscal_2_kernelILi256E19rocblas_complex_numIfES1_PKfPKPS1_EviT2_lT3_lli ; -- Begin function _ZL22rocblas_sscal_2_kernelILi256E19rocblas_complex_numIfES1_PKfPKPS1_EviT2_lT3_lli
	.p2align	8
	.type	_ZL22rocblas_sscal_2_kernelILi256E19rocblas_complex_numIfES1_PKfPKPS1_EviT2_lT3_lli,@function
_ZL22rocblas_sscal_2_kernelILi256E19rocblas_complex_numIfES1_PKfPKPS1_EviT2_lT3_lli: ; @_ZL22rocblas_sscal_2_kernelILi256E19rocblas_complex_numIfES1_PKfPKPS1_EviT2_lT3_lli
; %bb.0:
	s_load_b32 s12, s[0:1], 0x30
	s_bfe_u32 s2, ttmp6, 0x40014
	s_lshr_b32 s3, ttmp7, 16
	s_add_co_i32 s2, s2, 1
	s_bfe_u32 s4, ttmp6, 0x40008
	s_mul_i32 s2, s3, s2
	s_getreg_b32 s13, hwreg(HW_REG_IB_STS2, 6, 4)
	s_add_co_i32 s4, s4, s2
	s_cmp_eq_u32 s13, 0
	s_cselect_b32 s2, s3, s4
	s_mov_b32 s3, 0
	s_wait_kmcnt 0x0
	s_cmp_ge_u32 s2, s12
	s_cbranch_scc1 .LBB64_9
; %bb.1:
	s_load_b32 s14, s[0:1], 0x0
	s_bfe_u32 s15, ttmp6, 0x4000c
	s_load_b256 s[4:11], s[0:1], 0x8
	s_add_co_i32 s15, s15, 1
	s_wait_xcnt 0x0
	s_and_b32 s0, ttmp6, 15
	s_mul_i32 s1, ttmp9, s15
	v_dual_mov_b32 v1, 0 :: v_dual_lshlrev_b32 v0, 1, v0
	s_add_co_i32 s0, s0, s1
	s_cmp_eq_u32 s13, 0
	s_cselect_b32 s0, ttmp9, s0
	s_delay_alu instid0(VALU_DEP_1) | instid1(SALU_CYCLE_1)
	v_lshl_or_b32 v0, s0, 9, v0
	s_delay_alu instid0(VALU_DEP_1)
	v_or_b32_e32 v2, 1, v0
	s_wait_kmcnt 0x0
	s_bitcmp1_b32 s14, 0
	s_cselect_b32 s1, -1, 0
	s_add_co_i32 s0, s14, -1
	s_lshl_b64 s[10:11], s[10:11], 3
	v_cmp_eq_u32_e32 vcc_lo, s0, v0
	v_cmp_gt_u32_e64 s0, s14, v2
	s_and_b32 s1, s1, vcc_lo
	s_branch .LBB64_4
.LBB64_2:                               ;   in Loop: Header=BB64_4 Depth=1
	s_wait_xcnt 0x0
	s_or_b32 exec_lo, exec_lo, s13
.LBB64_3:                               ;   in Loop: Header=BB64_4 Depth=1
	s_add_co_i32 s2, s2, 0x10000
	s_delay_alu instid0(SALU_CYCLE_1)
	s_cmp_lt_u32 s2, s12
	s_cbranch_scc0 .LBB64_9
.LBB64_4:                               ; =>This Inner Loop Header: Depth=1
	s_wait_xcnt 0x0
	s_mul_u64 s[14:15], s[6:7], s[2:3]
	s_delay_alu instid0(SALU_CYCLE_1) | instskip(NEXT) | instid1(SALU_CYCLE_1)
	s_lshl_b64 s[14:15], s[14:15], 2
	s_add_nc_u64 s[14:15], s[4:5], s[14:15]
	global_load_b32 v2, v1, s[14:15]
	s_wait_loadcnt 0x0
	v_cmp_eq_f32_e32 vcc_lo, 1.0, v2
	s_cbranch_vccnz .LBB64_3
; %bb.5:                                ;   in Loop: Header=BB64_4 Depth=1
	s_wait_xcnt 0x0
	s_lshl_b64 s[14:15], s[2:3], 3
	s_delay_alu instid0(SALU_CYCLE_1) | instskip(SKIP_4) | instid1(SALU_CYCLE_1)
	s_add_nc_u64 s[14:15], s[8:9], s[14:15]
	s_load_b64 s[14:15], s[14:15], 0x0
	s_wait_kmcnt 0x0
	s_wait_xcnt 0x0
	s_add_nc_u64 s[14:15], s[14:15], s[10:11]
	v_lshl_add_u64 v[4:5], v[0:1], 3, s[14:15]
	s_and_saveexec_b32 s13, s0
	s_cbranch_execz .LBB64_7
; %bb.6:                                ;   in Loop: Header=BB64_4 Depth=1
	flat_load_b128 v[6:9], v[4:5]
	s_wait_loadcnt_dscnt 0x0
	v_pk_mul_f32 v[10:11], v[6:7], 0 op_sel_hi:[1,0]
	v_pk_mul_f32 v[12:13], v[8:9], 0 op_sel_hi:[1,0]
	s_delay_alu instid0(VALU_DEP_2) | instskip(NEXT) | instid1(VALU_DEP_2)
	v_pk_fma_f32 v[14:15], v[2:3], v[6:7], v[10:11] op_sel:[0,0,1] op_sel_hi:[0,1,0]
	v_pk_fma_f32 v[16:17], v[2:3], v[8:9], v[12:13] op_sel:[0,0,1] op_sel_hi:[0,1,0]
	v_pk_fma_f32 v[6:7], v[2:3], v[6:7], v[10:11] op_sel:[0,0,1] op_sel_hi:[1,1,0] neg_lo:[0,0,1] neg_hi:[0,0,1]
	v_pk_fma_f32 v[8:9], v[2:3], v[8:9], v[12:13] op_sel:[0,0,1] op_sel_hi:[1,1,0] neg_lo:[0,0,1] neg_hi:[0,0,1]
	s_delay_alu instid0(VALU_DEP_3)
	v_dual_mov_b32 v7, v15 :: v_dual_mov_b32 v9, v17
	flat_store_b128 v[4:5], v[6:9]
.LBB64_7:                               ;   in Loop: Header=BB64_4 Depth=1
	s_wait_xcnt 0x0
	s_or_b32 exec_lo, exec_lo, s13
	s_and_saveexec_b32 s13, s1
	s_cbranch_execz .LBB64_2
; %bb.8:                                ;   in Loop: Header=BB64_4 Depth=1
	flat_load_b64 v[6:7], v[4:5]
	s_wait_loadcnt_dscnt 0x0
	v_pk_mul_f32 v[8:9], v[6:7], 0 op_sel_hi:[1,0]
	s_delay_alu instid0(VALU_DEP_1) | instskip(SKIP_1) | instid1(VALU_DEP_2)
	v_pk_fma_f32 v[10:11], v[2:3], v[6:7], v[8:9] op_sel:[0,0,1] op_sel_hi:[0,1,0]
	v_pk_fma_f32 v[2:3], v[2:3], v[6:7], v[8:9] op_sel:[0,0,1] op_sel_hi:[1,1,0] neg_lo:[0,0,1] neg_hi:[0,0,1]
	v_mov_b32_e32 v3, v11
	flat_store_b64 v[4:5], v[2:3]
	s_branch .LBB64_2
.LBB64_9:
	s_endpgm
	.section	.rodata,"a",@progbits
	.p2align	6, 0x0
	.amdhsa_kernel _ZL22rocblas_sscal_2_kernelILi256E19rocblas_complex_numIfES1_PKfPKPS1_EviT2_lT3_lli
		.amdhsa_group_segment_fixed_size 0
		.amdhsa_private_segment_fixed_size 0
		.amdhsa_kernarg_size 52
		.amdhsa_user_sgpr_count 2
		.amdhsa_user_sgpr_dispatch_ptr 0
		.amdhsa_user_sgpr_queue_ptr 0
		.amdhsa_user_sgpr_kernarg_segment_ptr 1
		.amdhsa_user_sgpr_dispatch_id 0
		.amdhsa_user_sgpr_kernarg_preload_length 0
		.amdhsa_user_sgpr_kernarg_preload_offset 0
		.amdhsa_user_sgpr_private_segment_size 0
		.amdhsa_wavefront_size32 1
		.amdhsa_uses_dynamic_stack 0
		.amdhsa_enable_private_segment 0
		.amdhsa_system_sgpr_workgroup_id_x 1
		.amdhsa_system_sgpr_workgroup_id_y 0
		.amdhsa_system_sgpr_workgroup_id_z 1
		.amdhsa_system_sgpr_workgroup_info 0
		.amdhsa_system_vgpr_workitem_id 0
		.amdhsa_next_free_vgpr 18
		.amdhsa_next_free_sgpr 16
		.amdhsa_named_barrier_count 0
		.amdhsa_reserve_vcc 1
		.amdhsa_float_round_mode_32 0
		.amdhsa_float_round_mode_16_64 0
		.amdhsa_float_denorm_mode_32 3
		.amdhsa_float_denorm_mode_16_64 3
		.amdhsa_fp16_overflow 0
		.amdhsa_memory_ordered 1
		.amdhsa_forward_progress 1
		.amdhsa_inst_pref_size 4
		.amdhsa_round_robin_scheduling 0
		.amdhsa_exception_fp_ieee_invalid_op 0
		.amdhsa_exception_fp_denorm_src 0
		.amdhsa_exception_fp_ieee_div_zero 0
		.amdhsa_exception_fp_ieee_overflow 0
		.amdhsa_exception_fp_ieee_underflow 0
		.amdhsa_exception_fp_ieee_inexact 0
		.amdhsa_exception_int_div_zero 0
	.end_amdhsa_kernel
	.section	.text._ZL22rocblas_sscal_2_kernelILi256E19rocblas_complex_numIfES1_PKfPKPS1_EviT2_lT3_lli,"axG",@progbits,_ZL22rocblas_sscal_2_kernelILi256E19rocblas_complex_numIfES1_PKfPKPS1_EviT2_lT3_lli,comdat
.Lfunc_end64:
	.size	_ZL22rocblas_sscal_2_kernelILi256E19rocblas_complex_numIfES1_PKfPKPS1_EviT2_lT3_lli, .Lfunc_end64-_ZL22rocblas_sscal_2_kernelILi256E19rocblas_complex_numIfES1_PKfPKPS1_EviT2_lT3_lli
                                        ; -- End function
	.set _ZL22rocblas_sscal_2_kernelILi256E19rocblas_complex_numIfES1_PKfPKPS1_EviT2_lT3_lli.num_vgpr, 18
	.set _ZL22rocblas_sscal_2_kernelILi256E19rocblas_complex_numIfES1_PKfPKPS1_EviT2_lT3_lli.num_agpr, 0
	.set _ZL22rocblas_sscal_2_kernelILi256E19rocblas_complex_numIfES1_PKfPKPS1_EviT2_lT3_lli.numbered_sgpr, 16
	.set _ZL22rocblas_sscal_2_kernelILi256E19rocblas_complex_numIfES1_PKfPKPS1_EviT2_lT3_lli.num_named_barrier, 0
	.set _ZL22rocblas_sscal_2_kernelILi256E19rocblas_complex_numIfES1_PKfPKPS1_EviT2_lT3_lli.private_seg_size, 0
	.set _ZL22rocblas_sscal_2_kernelILi256E19rocblas_complex_numIfES1_PKfPKPS1_EviT2_lT3_lli.uses_vcc, 1
	.set _ZL22rocblas_sscal_2_kernelILi256E19rocblas_complex_numIfES1_PKfPKPS1_EviT2_lT3_lli.uses_flat_scratch, 0
	.set _ZL22rocblas_sscal_2_kernelILi256E19rocblas_complex_numIfES1_PKfPKPS1_EviT2_lT3_lli.has_dyn_sized_stack, 0
	.set _ZL22rocblas_sscal_2_kernelILi256E19rocblas_complex_numIfES1_PKfPKPS1_EviT2_lT3_lli.has_recursion, 0
	.set _ZL22rocblas_sscal_2_kernelILi256E19rocblas_complex_numIfES1_PKfPKPS1_EviT2_lT3_lli.has_indirect_call, 0
	.section	.AMDGPU.csdata,"",@progbits
; Kernel info:
; codeLenInByte = 492
; TotalNumSgprs: 18
; NumVgprs: 18
; ScratchSize: 0
; MemoryBound: 0
; FloatMode: 240
; IeeeMode: 1
; LDSByteSize: 0 bytes/workgroup (compile time only)
; SGPRBlocks: 0
; VGPRBlocks: 1
; NumSGPRsForWavesPerEU: 18
; NumVGPRsForWavesPerEU: 18
; NamedBarCnt: 0
; Occupancy: 16
; WaveLimiterHint : 1
; COMPUTE_PGM_RSRC2:SCRATCH_EN: 0
; COMPUTE_PGM_RSRC2:USER_SGPR: 2
; COMPUTE_PGM_RSRC2:TRAP_HANDLER: 0
; COMPUTE_PGM_RSRC2:TGID_X_EN: 1
; COMPUTE_PGM_RSRC2:TGID_Y_EN: 0
; COMPUTE_PGM_RSRC2:TGID_Z_EN: 1
; COMPUTE_PGM_RSRC2:TIDIG_COMP_CNT: 0
	.section	.text._ZL22rocblas_sscal_2_kernelILi256E19rocblas_complex_numIfES1_fPKPS1_EviT2_lT3_lli,"axG",@progbits,_ZL22rocblas_sscal_2_kernelILi256E19rocblas_complex_numIfES1_fPKPS1_EviT2_lT3_lli,comdat
	.globl	_ZL22rocblas_sscal_2_kernelILi256E19rocblas_complex_numIfES1_fPKPS1_EviT2_lT3_lli ; -- Begin function _ZL22rocblas_sscal_2_kernelILi256E19rocblas_complex_numIfES1_fPKPS1_EviT2_lT3_lli
	.p2align	8
	.type	_ZL22rocblas_sscal_2_kernelILi256E19rocblas_complex_numIfES1_fPKPS1_EviT2_lT3_lli,@function
_ZL22rocblas_sscal_2_kernelILi256E19rocblas_complex_numIfES1_fPKPS1_EviT2_lT3_lli: ; @_ZL22rocblas_sscal_2_kernelILi256E19rocblas_complex_numIfES1_fPKPS1_EviT2_lT3_lli
; %bb.0:
	s_load_b32 s8, s[0:1], 0x28
	s_bfe_u32 s2, ttmp6, 0x40014
	s_lshr_b32 s3, ttmp7, 16
	s_add_co_i32 s2, s2, 1
	s_bfe_u32 s4, ttmp6, 0x40008
	s_mul_i32 s2, s3, s2
	s_getreg_b32 s10, hwreg(HW_REG_IB_STS2, 6, 4)
	s_add_co_i32 s4, s4, s2
	s_cmp_eq_u32 s10, 0
	s_cselect_b32 s9, s3, s4
	s_wait_kmcnt 0x0
	s_cmp_ge_u32 s9, s8
	s_cbranch_scc1 .LBB65_9
; %bb.1:
	s_clause 0x1
	s_load_b64 s[2:3], s[0:1], 0x0
	s_load_b128 s[4:7], s[0:1], 0x10
	s_bfe_u32 s11, ttmp6, 0x4000c
	s_wait_xcnt 0x0
	s_and_b32 s0, ttmp6, 15
	s_add_co_i32 s11, s11, 1
	v_dual_mov_b32 v1, 0 :: v_dual_lshlrev_b32 v0, 1, v0
	s_mul_i32 s1, ttmp9, s11
	s_delay_alu instid0(SALU_CYCLE_1) | instskip(SKIP_2) | instid1(SALU_CYCLE_1)
	s_add_co_i32 s0, s0, s1
	s_cmp_eq_u32 s10, 0
	s_cselect_b32 s0, ttmp9, s0
	v_lshl_or_b32 v0, s0, 9, v0
	s_delay_alu instid0(VALU_DEP_1)
	v_or_b32_e32 v2, 1, v0
	s_wait_kmcnt 0x0
	s_cmp_neq_f32 s3, 1.0
	s_cselect_b32 s1, -1, 0
	s_bitcmp1_b32 s2, 0
	s_cselect_b32 s10, -1, 0
	s_add_co_i32 s0, s2, -1
	s_lshl_b64 s[6:7], s[6:7], 3
	v_cmp_eq_u32_e32 vcc_lo, s0, v0
	v_cmp_gt_u32_e64 s0, s2, v2
	s_mov_b32 s2, s3
	s_and_b32 s10, s10, vcc_lo
	s_branch .LBB65_4
.LBB65_2:                               ;   in Loop: Header=BB65_4 Depth=1
	s_wait_xcnt 0x0
	s_or_b32 exec_lo, exec_lo, s11
.LBB65_3:                               ;   in Loop: Header=BB65_4 Depth=1
	s_add_co_i32 s9, s9, 0x10000
	s_delay_alu instid0(SALU_CYCLE_1)
	s_cmp_lt_u32 s9, s8
	s_cbranch_scc0 .LBB65_9
.LBB65_4:                               ; =>This Inner Loop Header: Depth=1
	s_and_not1_b32 vcc_lo, exec_lo, s1
	s_cbranch_vccnz .LBB65_3
; %bb.5:                                ;   in Loop: Header=BB65_4 Depth=1
	s_load_b64 s[12:13], s[4:5], s9 offset:0x0 scale_offset
	s_wait_kmcnt 0x0
	s_add_nc_u64 s[12:13], s[12:13], s[6:7]
	s_delay_alu instid0(SALU_CYCLE_1)
	v_lshl_add_u64 v[2:3], v[0:1], 3, s[12:13]
	s_and_saveexec_b32 s11, s0
	s_cbranch_execz .LBB65_7
; %bb.6:                                ;   in Loop: Header=BB65_4 Depth=1
	flat_load_b128 v[4:7], v[2:3]
	v_mov_b64_e32 v[8:9], s[2:3]
	s_wait_loadcnt_dscnt 0x0
	v_pk_mul_f32 v[10:11], v[4:5], 0 op_sel_hi:[1,0]
	v_pk_mul_f32 v[12:13], v[6:7], 0 op_sel_hi:[1,0]
	s_delay_alu instid0(VALU_DEP_2) | instskip(NEXT) | instid1(VALU_DEP_2)
	v_pk_fma_f32 v[14:15], v[8:9], v[4:5], v[10:11] op_sel:[0,0,1] op_sel_hi:[1,1,0]
	v_pk_fma_f32 v[16:17], v[8:9], v[6:7], v[12:13] op_sel:[0,0,1] op_sel_hi:[1,1,0]
	v_pk_fma_f32 v[4:5], v[8:9], v[4:5], v[10:11] op_sel:[0,0,1] op_sel_hi:[1,1,0] neg_lo:[0,0,1] neg_hi:[0,0,1]
	v_pk_fma_f32 v[6:7], v[8:9], v[6:7], v[12:13] op_sel:[0,0,1] op_sel_hi:[1,1,0] neg_lo:[0,0,1] neg_hi:[0,0,1]
	s_delay_alu instid0(VALU_DEP_3)
	v_dual_mov_b32 v5, v15 :: v_dual_mov_b32 v7, v17
	flat_store_b128 v[2:3], v[4:7]
.LBB65_7:                               ;   in Loop: Header=BB65_4 Depth=1
	s_wait_xcnt 0x0
	s_or_b32 exec_lo, exec_lo, s11
	s_and_saveexec_b32 s11, s10
	s_cbranch_execz .LBB65_2
; %bb.8:                                ;   in Loop: Header=BB65_4 Depth=1
	flat_load_b64 v[4:5], v[2:3]
	v_mov_b64_e32 v[8:9], s[2:3]
	s_wait_loadcnt_dscnt 0x0
	v_pk_mul_f32 v[6:7], v[4:5], 0 op_sel_hi:[1,0]
	s_delay_alu instid0(VALU_DEP_1) | instskip(SKIP_1) | instid1(VALU_DEP_2)
	v_pk_fma_f32 v[10:11], v[8:9], v[4:5], v[6:7] op_sel:[0,0,1] op_sel_hi:[1,1,0]
	v_pk_fma_f32 v[4:5], v[8:9], v[4:5], v[6:7] op_sel:[0,0,1] op_sel_hi:[1,1,0] neg_lo:[0,0,1] neg_hi:[0,0,1]
	v_mov_b32_e32 v5, v11
	flat_store_b64 v[2:3], v[4:5]
	s_branch .LBB65_2
.LBB65_9:
	s_endpgm
	.section	.rodata,"a",@progbits
	.p2align	6, 0x0
	.amdhsa_kernel _ZL22rocblas_sscal_2_kernelILi256E19rocblas_complex_numIfES1_fPKPS1_EviT2_lT3_lli
		.amdhsa_group_segment_fixed_size 0
		.amdhsa_private_segment_fixed_size 0
		.amdhsa_kernarg_size 44
		.amdhsa_user_sgpr_count 2
		.amdhsa_user_sgpr_dispatch_ptr 0
		.amdhsa_user_sgpr_queue_ptr 0
		.amdhsa_user_sgpr_kernarg_segment_ptr 1
		.amdhsa_user_sgpr_dispatch_id 0
		.amdhsa_user_sgpr_kernarg_preload_length 0
		.amdhsa_user_sgpr_kernarg_preload_offset 0
		.amdhsa_user_sgpr_private_segment_size 0
		.amdhsa_wavefront_size32 1
		.amdhsa_uses_dynamic_stack 0
		.amdhsa_enable_private_segment 0
		.amdhsa_system_sgpr_workgroup_id_x 1
		.amdhsa_system_sgpr_workgroup_id_y 0
		.amdhsa_system_sgpr_workgroup_id_z 1
		.amdhsa_system_sgpr_workgroup_info 0
		.amdhsa_system_vgpr_workitem_id 0
		.amdhsa_next_free_vgpr 18
		.amdhsa_next_free_sgpr 14
		.amdhsa_named_barrier_count 0
		.amdhsa_reserve_vcc 1
		.amdhsa_float_round_mode_32 0
		.amdhsa_float_round_mode_16_64 0
		.amdhsa_float_denorm_mode_32 3
		.amdhsa_float_denorm_mode_16_64 3
		.amdhsa_fp16_overflow 0
		.amdhsa_memory_ordered 1
		.amdhsa_forward_progress 1
		.amdhsa_inst_pref_size 4
		.amdhsa_round_robin_scheduling 0
		.amdhsa_exception_fp_ieee_invalid_op 0
		.amdhsa_exception_fp_denorm_src 0
		.amdhsa_exception_fp_ieee_div_zero 0
		.amdhsa_exception_fp_ieee_overflow 0
		.amdhsa_exception_fp_ieee_underflow 0
		.amdhsa_exception_fp_ieee_inexact 0
		.amdhsa_exception_int_div_zero 0
	.end_amdhsa_kernel
	.section	.text._ZL22rocblas_sscal_2_kernelILi256E19rocblas_complex_numIfES1_fPKPS1_EviT2_lT3_lli,"axG",@progbits,_ZL22rocblas_sscal_2_kernelILi256E19rocblas_complex_numIfES1_fPKPS1_EviT2_lT3_lli,comdat
.Lfunc_end65:
	.size	_ZL22rocblas_sscal_2_kernelILi256E19rocblas_complex_numIfES1_fPKPS1_EviT2_lT3_lli, .Lfunc_end65-_ZL22rocblas_sscal_2_kernelILi256E19rocblas_complex_numIfES1_fPKPS1_EviT2_lT3_lli
                                        ; -- End function
	.set _ZL22rocblas_sscal_2_kernelILi256E19rocblas_complex_numIfES1_fPKPS1_EviT2_lT3_lli.num_vgpr, 18
	.set _ZL22rocblas_sscal_2_kernelILi256E19rocblas_complex_numIfES1_fPKPS1_EviT2_lT3_lli.num_agpr, 0
	.set _ZL22rocblas_sscal_2_kernelILi256E19rocblas_complex_numIfES1_fPKPS1_EviT2_lT3_lli.numbered_sgpr, 14
	.set _ZL22rocblas_sscal_2_kernelILi256E19rocblas_complex_numIfES1_fPKPS1_EviT2_lT3_lli.num_named_barrier, 0
	.set _ZL22rocblas_sscal_2_kernelILi256E19rocblas_complex_numIfES1_fPKPS1_EviT2_lT3_lli.private_seg_size, 0
	.set _ZL22rocblas_sscal_2_kernelILi256E19rocblas_complex_numIfES1_fPKPS1_EviT2_lT3_lli.uses_vcc, 1
	.set _ZL22rocblas_sscal_2_kernelILi256E19rocblas_complex_numIfES1_fPKPS1_EviT2_lT3_lli.uses_flat_scratch, 0
	.set _ZL22rocblas_sscal_2_kernelILi256E19rocblas_complex_numIfES1_fPKPS1_EviT2_lT3_lli.has_dyn_sized_stack, 0
	.set _ZL22rocblas_sscal_2_kernelILi256E19rocblas_complex_numIfES1_fPKPS1_EviT2_lT3_lli.has_recursion, 0
	.set _ZL22rocblas_sscal_2_kernelILi256E19rocblas_complex_numIfES1_fPKPS1_EviT2_lT3_lli.has_indirect_call, 0
	.section	.AMDGPU.csdata,"",@progbits
; Kernel info:
; codeLenInByte = 460
; TotalNumSgprs: 16
; NumVgprs: 18
; ScratchSize: 0
; MemoryBound: 0
; FloatMode: 240
; IeeeMode: 1
; LDSByteSize: 0 bytes/workgroup (compile time only)
; SGPRBlocks: 0
; VGPRBlocks: 1
; NumSGPRsForWavesPerEU: 16
; NumVGPRsForWavesPerEU: 18
; NamedBarCnt: 0
; Occupancy: 16
; WaveLimiterHint : 1
; COMPUTE_PGM_RSRC2:SCRATCH_EN: 0
; COMPUTE_PGM_RSRC2:USER_SGPR: 2
; COMPUTE_PGM_RSRC2:TRAP_HANDLER: 0
; COMPUTE_PGM_RSRC2:TGID_X_EN: 1
; COMPUTE_PGM_RSRC2:TGID_Y_EN: 0
; COMPUTE_PGM_RSRC2:TGID_Z_EN: 1
; COMPUTE_PGM_RSRC2:TIDIG_COMP_CNT: 0
	.section	.text._ZL19rocblas_scal_kernelIiLi256E19rocblas_complex_numIfES1_PKfPKPS1_EviT3_lT4_lT_li,"axG",@progbits,_ZL19rocblas_scal_kernelIiLi256E19rocblas_complex_numIfES1_PKfPKPS1_EviT3_lT4_lT_li,comdat
	.globl	_ZL19rocblas_scal_kernelIiLi256E19rocblas_complex_numIfES1_PKfPKPS1_EviT3_lT4_lT_li ; -- Begin function _ZL19rocblas_scal_kernelIiLi256E19rocblas_complex_numIfES1_PKfPKPS1_EviT3_lT4_lT_li
	.p2align	8
	.type	_ZL19rocblas_scal_kernelIiLi256E19rocblas_complex_numIfES1_PKfPKPS1_EviT3_lT4_lT_li,@function
_ZL19rocblas_scal_kernelIiLi256E19rocblas_complex_numIfES1_PKfPKPS1_EviT3_lT4_lT_li: ; @_ZL19rocblas_scal_kernelIiLi256E19rocblas_complex_numIfES1_PKfPKPS1_EviT3_lT4_lT_li
; %bb.0:
	s_load_b32 s12, s[0:1], 0x38
	s_bfe_u32 s2, ttmp6, 0x40014
	s_lshr_b32 s3, ttmp7, 16
	s_add_co_i32 s2, s2, 1
	s_bfe_u32 s5, ttmp6, 0x40008
	s_mul_i32 s2, s3, s2
	s_getreg_b32 s4, hwreg(HW_REG_IB_STS2, 6, 4)
	s_add_co_i32 s5, s5, s2
	s_cmp_eq_u32 s4, 0
	s_cselect_b32 s2, s3, s5
	s_mov_b32 s3, 0
	s_wait_kmcnt 0x0
	s_cmp_ge_u32 s2, s12
	s_cbranch_scc1 .LBB66_5
; %bb.1:
	s_load_b32 s6, s[0:1], 0x28
	s_bfe_u32 s5, ttmp6, 0x4000c
	s_and_b32 s7, ttmp6, 15
	s_add_co_i32 s5, s5, 1
	v_mov_b32_e32 v1, 0
	s_mul_i32 s5, ttmp9, s5
	s_delay_alu instid0(SALU_CYCLE_1) | instskip(SKIP_4) | instid1(SALU_CYCLE_1)
	s_add_co_i32 s5, s7, s5
	s_wait_kmcnt 0x0
	s_ashr_i32 s7, s6, 31
	s_cmp_eq_u32 s4, 0
	s_cselect_b32 s4, ttmp9, s5
	v_lshl_or_b32 v0, s4, 8, v0
	s_delay_alu instid0(VALU_DEP_1)
	v_mul_u64_e32 v[2:3], s[6:7], v[0:1]
	s_clause 0x1
	s_load_b32 s13, s[0:1], 0x0
	s_load_b256 s[4:11], s[0:1], 0x8
	s_wait_kmcnt 0x0
	v_cmp_gt_u32_e32 vcc_lo, s13, v0
	s_lshl_b64 s[0:1], s[10:11], 3
	s_branch .LBB66_3
.LBB66_2:                               ;   in Loop: Header=BB66_3 Depth=1
	s_wait_xcnt 0x0
	s_or_b32 exec_lo, exec_lo, s10
	s_add_co_i32 s2, s2, 0x10000
	s_delay_alu instid0(SALU_CYCLE_1)
	s_cmp_lt_u32 s2, s12
	s_cbranch_scc0 .LBB66_5
.LBB66_3:                               ; =>This Inner Loop Header: Depth=1
	s_mul_u64 s[10:11], s[6:7], s[2:3]
	s_delay_alu instid0(SALU_CYCLE_1) | instskip(NEXT) | instid1(SALU_CYCLE_1)
	s_lshl_b64 s[10:11], s[10:11], 2
	s_add_nc_u64 s[10:11], s[4:5], s[10:11]
	global_load_b32 v0, v1, s[10:11]
	s_wait_loadcnt 0x0
	s_wait_xcnt 0x0
	v_readfirstlane_b32 s10, v0
	s_cmp_neq_f32 s10, 1.0
	s_cselect_b32 s10, -1, 0
	s_delay_alu instid0(SALU_CYCLE_1) | instskip(NEXT) | instid1(SALU_CYCLE_1)
	s_and_b32 s11, vcc_lo, s10
	s_and_saveexec_b32 s10, s11
	s_cbranch_execz .LBB66_2
; %bb.4:                                ;   in Loop: Header=BB66_3 Depth=1
	s_lshl_b64 s[14:15], s[2:3], 3
	s_delay_alu instid0(SALU_CYCLE_1) | instskip(SKIP_4) | instid1(SALU_CYCLE_1)
	s_add_nc_u64 s[14:15], s[8:9], s[14:15]
	s_load_b64 s[14:15], s[14:15], 0x0
	s_wait_kmcnt 0x0
	s_wait_xcnt 0x0
	s_add_nc_u64 s[14:15], s[14:15], s[0:1]
	v_lshl_add_u64 v[4:5], v[2:3], 3, s[14:15]
	flat_load_b64 v[6:7], v[4:5]
	s_wait_loadcnt_dscnt 0x0
	v_pk_mul_f32 v[8:9], v[6:7], 0 op_sel_hi:[1,0]
	s_delay_alu instid0(VALU_DEP_1) | instskip(SKIP_1) | instid1(VALU_DEP_2)
	v_pk_fma_f32 v[10:11], v[0:1], v[6:7], v[8:9] op_sel:[0,0,1] op_sel_hi:[0,1,0]
	v_pk_fma_f32 v[6:7], v[0:1], v[6:7], v[8:9] op_sel:[0,0,1] op_sel_hi:[1,1,0] neg_lo:[0,0,1] neg_hi:[0,0,1]
	v_mov_b32_e32 v7, v11
	flat_store_b64 v[4:5], v[6:7]
	s_branch .LBB66_2
.LBB66_5:
	s_endpgm
	.section	.rodata,"a",@progbits
	.p2align	6, 0x0
	.amdhsa_kernel _ZL19rocblas_scal_kernelIiLi256E19rocblas_complex_numIfES1_PKfPKPS1_EviT3_lT4_lT_li
		.amdhsa_group_segment_fixed_size 0
		.amdhsa_private_segment_fixed_size 0
		.amdhsa_kernarg_size 60
		.amdhsa_user_sgpr_count 2
		.amdhsa_user_sgpr_dispatch_ptr 0
		.amdhsa_user_sgpr_queue_ptr 0
		.amdhsa_user_sgpr_kernarg_segment_ptr 1
		.amdhsa_user_sgpr_dispatch_id 0
		.amdhsa_user_sgpr_kernarg_preload_length 0
		.amdhsa_user_sgpr_kernarg_preload_offset 0
		.amdhsa_user_sgpr_private_segment_size 0
		.amdhsa_wavefront_size32 1
		.amdhsa_uses_dynamic_stack 0
		.amdhsa_enable_private_segment 0
		.amdhsa_system_sgpr_workgroup_id_x 1
		.amdhsa_system_sgpr_workgroup_id_y 0
		.amdhsa_system_sgpr_workgroup_id_z 1
		.amdhsa_system_sgpr_workgroup_info 0
		.amdhsa_system_vgpr_workitem_id 0
		.amdhsa_next_free_vgpr 12
		.amdhsa_next_free_sgpr 16
		.amdhsa_named_barrier_count 0
		.amdhsa_reserve_vcc 1
		.amdhsa_float_round_mode_32 0
		.amdhsa_float_round_mode_16_64 0
		.amdhsa_float_denorm_mode_32 3
		.amdhsa_float_denorm_mode_16_64 3
		.amdhsa_fp16_overflow 0
		.amdhsa_memory_ordered 1
		.amdhsa_forward_progress 1
		.amdhsa_inst_pref_size 3
		.amdhsa_round_robin_scheduling 0
		.amdhsa_exception_fp_ieee_invalid_op 0
		.amdhsa_exception_fp_denorm_src 0
		.amdhsa_exception_fp_ieee_div_zero 0
		.amdhsa_exception_fp_ieee_overflow 0
		.amdhsa_exception_fp_ieee_underflow 0
		.amdhsa_exception_fp_ieee_inexact 0
		.amdhsa_exception_int_div_zero 0
	.end_amdhsa_kernel
	.section	.text._ZL19rocblas_scal_kernelIiLi256E19rocblas_complex_numIfES1_PKfPKPS1_EviT3_lT4_lT_li,"axG",@progbits,_ZL19rocblas_scal_kernelIiLi256E19rocblas_complex_numIfES1_PKfPKPS1_EviT3_lT4_lT_li,comdat
.Lfunc_end66:
	.size	_ZL19rocblas_scal_kernelIiLi256E19rocblas_complex_numIfES1_PKfPKPS1_EviT3_lT4_lT_li, .Lfunc_end66-_ZL19rocblas_scal_kernelIiLi256E19rocblas_complex_numIfES1_PKfPKPS1_EviT3_lT4_lT_li
                                        ; -- End function
	.set _ZL19rocblas_scal_kernelIiLi256E19rocblas_complex_numIfES1_PKfPKPS1_EviT3_lT4_lT_li.num_vgpr, 12
	.set _ZL19rocblas_scal_kernelIiLi256E19rocblas_complex_numIfES1_PKfPKPS1_EviT3_lT4_lT_li.num_agpr, 0
	.set _ZL19rocblas_scal_kernelIiLi256E19rocblas_complex_numIfES1_PKfPKPS1_EviT3_lT4_lT_li.numbered_sgpr, 16
	.set _ZL19rocblas_scal_kernelIiLi256E19rocblas_complex_numIfES1_PKfPKPS1_EviT3_lT4_lT_li.num_named_barrier, 0
	.set _ZL19rocblas_scal_kernelIiLi256E19rocblas_complex_numIfES1_PKfPKPS1_EviT3_lT4_lT_li.private_seg_size, 0
	.set _ZL19rocblas_scal_kernelIiLi256E19rocblas_complex_numIfES1_PKfPKPS1_EviT3_lT4_lT_li.uses_vcc, 1
	.set _ZL19rocblas_scal_kernelIiLi256E19rocblas_complex_numIfES1_PKfPKPS1_EviT3_lT4_lT_li.uses_flat_scratch, 0
	.set _ZL19rocblas_scal_kernelIiLi256E19rocblas_complex_numIfES1_PKfPKPS1_EviT3_lT4_lT_li.has_dyn_sized_stack, 0
	.set _ZL19rocblas_scal_kernelIiLi256E19rocblas_complex_numIfES1_PKfPKPS1_EviT3_lT4_lT_li.has_recursion, 0
	.set _ZL19rocblas_scal_kernelIiLi256E19rocblas_complex_numIfES1_PKfPKPS1_EviT3_lT4_lT_li.has_indirect_call, 0
	.section	.AMDGPU.csdata,"",@progbits
; Kernel info:
; codeLenInByte = 376
; TotalNumSgprs: 18
; NumVgprs: 12
; ScratchSize: 0
; MemoryBound: 0
; FloatMode: 240
; IeeeMode: 1
; LDSByteSize: 0 bytes/workgroup (compile time only)
; SGPRBlocks: 0
; VGPRBlocks: 0
; NumSGPRsForWavesPerEU: 18
; NumVGPRsForWavesPerEU: 12
; NamedBarCnt: 0
; Occupancy: 16
; WaveLimiterHint : 1
; COMPUTE_PGM_RSRC2:SCRATCH_EN: 0
; COMPUTE_PGM_RSRC2:USER_SGPR: 2
; COMPUTE_PGM_RSRC2:TRAP_HANDLER: 0
; COMPUTE_PGM_RSRC2:TGID_X_EN: 1
; COMPUTE_PGM_RSRC2:TGID_Y_EN: 0
; COMPUTE_PGM_RSRC2:TGID_Z_EN: 1
; COMPUTE_PGM_RSRC2:TIDIG_COMP_CNT: 0
	.section	.text._ZL19rocblas_scal_kernelIiLi256E19rocblas_complex_numIfES1_fPKPS1_EviT3_lT4_lT_li,"axG",@progbits,_ZL19rocblas_scal_kernelIiLi256E19rocblas_complex_numIfES1_fPKPS1_EviT3_lT4_lT_li,comdat
	.globl	_ZL19rocblas_scal_kernelIiLi256E19rocblas_complex_numIfES1_fPKPS1_EviT3_lT4_lT_li ; -- Begin function _ZL19rocblas_scal_kernelIiLi256E19rocblas_complex_numIfES1_fPKPS1_EviT3_lT4_lT_li
	.p2align	8
	.type	_ZL19rocblas_scal_kernelIiLi256E19rocblas_complex_numIfES1_fPKPS1_EviT3_lT4_lT_li,@function
_ZL19rocblas_scal_kernelIiLi256E19rocblas_complex_numIfES1_fPKPS1_EviT3_lT4_lT_li: ; @_ZL19rocblas_scal_kernelIiLi256E19rocblas_complex_numIfES1_fPKPS1_EviT3_lT4_lT_li
; %bb.0:
	s_load_b32 s8, s[0:1], 0x30
	s_bfe_u32 s2, ttmp6, 0x40014
	s_lshr_b32 s3, ttmp7, 16
	s_add_co_i32 s2, s2, 1
	s_bfe_u32 s5, ttmp6, 0x40008
	s_mul_i32 s4, s3, s2
	s_getreg_b32 s2, hwreg(HW_REG_IB_STS2, 6, 4)
	s_add_co_i32 s5, s5, s4
	s_cmp_eq_u32 s2, 0
	s_cselect_b32 s9, s3, s5
	s_wait_kmcnt 0x0
	s_cmp_ge_u32 s9, s8
	s_cbranch_scc1 .LBB67_5
; %bb.1:
	s_load_b32 s4, s[0:1], 0x20
	s_bfe_u32 s3, ttmp6, 0x4000c
	s_and_b32 s5, ttmp6, 15
	s_add_co_i32 s3, s3, 1
	v_mov_b32_e32 v3, 0
	s_mul_i32 s3, ttmp9, s3
	s_delay_alu instid0(SALU_CYCLE_1) | instskip(SKIP_4) | instid1(SALU_CYCLE_1)
	s_add_co_i32 s3, s5, s3
	s_wait_kmcnt 0x0
	s_ashr_i32 s5, s4, 31
	s_cmp_eq_u32 s2, 0
	s_cselect_b32 s2, ttmp9, s3
	v_lshl_or_b32 v2, s2, 8, v0
	s_delay_alu instid0(VALU_DEP_1)
	v_mul_u64_e32 v[0:1], s[4:5], v[2:3]
	s_clause 0x1
	s_load_b64 s[2:3], s[0:1], 0x0
	s_load_b128 s[4:7], s[0:1], 0x10
	s_wait_kmcnt 0x0
	s_cmp_neq_f32 s3, 1.0
	v_cmp_gt_u32_e32 vcc_lo, s2, v2
	s_mov_b32 s2, s3
	s_cselect_b32 s0, -1, 0
	s_delay_alu instid0(SALU_CYCLE_1)
	s_and_b32 s10, vcc_lo, s0
	s_lshl_b64 s[0:1], s[6:7], 3
	s_branch .LBB67_3
.LBB67_2:                               ;   in Loop: Header=BB67_3 Depth=1
	s_wait_xcnt 0x0
	s_or_b32 exec_lo, exec_lo, s6
	s_add_co_i32 s9, s9, 0x10000
	s_delay_alu instid0(SALU_CYCLE_1)
	s_cmp_lt_u32 s9, s8
	s_cbranch_scc0 .LBB67_5
.LBB67_3:                               ; =>This Inner Loop Header: Depth=1
	s_and_saveexec_b32 s6, s10
	s_cbranch_execz .LBB67_2
; %bb.4:                                ;   in Loop: Header=BB67_3 Depth=1
	s_load_b64 s[12:13], s[4:5], s9 offset:0x0 scale_offset
	v_mov_b64_e32 v[8:9], s[2:3]
	s_wait_kmcnt 0x0
	s_add_nc_u64 s[12:13], s[12:13], s[0:1]
	s_delay_alu instid0(VALU_DEP_3) | instid1(SALU_CYCLE_1)
	v_lshl_add_u64 v[2:3], v[0:1], 3, s[12:13]
	flat_load_b64 v[4:5], v[2:3]
	s_wait_loadcnt_dscnt 0x0
	v_pk_mul_f32 v[6:7], v[4:5], 0 op_sel_hi:[1,0]
	s_delay_alu instid0(VALU_DEP_1) | instskip(SKIP_1) | instid1(VALU_DEP_2)
	v_pk_fma_f32 v[10:11], v[8:9], v[4:5], v[6:7] op_sel:[0,0,1] op_sel_hi:[1,1,0]
	v_pk_fma_f32 v[4:5], v[8:9], v[4:5], v[6:7] op_sel:[0,0,1] op_sel_hi:[1,1,0] neg_lo:[0,0,1] neg_hi:[0,0,1]
	v_mov_b32_e32 v5, v11
	flat_store_b64 v[2:3], v[4:5]
	s_branch .LBB67_2
.LBB67_5:
	s_endpgm
	.section	.rodata,"a",@progbits
	.p2align	6, 0x0
	.amdhsa_kernel _ZL19rocblas_scal_kernelIiLi256E19rocblas_complex_numIfES1_fPKPS1_EviT3_lT4_lT_li
		.amdhsa_group_segment_fixed_size 0
		.amdhsa_private_segment_fixed_size 0
		.amdhsa_kernarg_size 52
		.amdhsa_user_sgpr_count 2
		.amdhsa_user_sgpr_dispatch_ptr 0
		.amdhsa_user_sgpr_queue_ptr 0
		.amdhsa_user_sgpr_kernarg_segment_ptr 1
		.amdhsa_user_sgpr_dispatch_id 0
		.amdhsa_user_sgpr_kernarg_preload_length 0
		.amdhsa_user_sgpr_kernarg_preload_offset 0
		.amdhsa_user_sgpr_private_segment_size 0
		.amdhsa_wavefront_size32 1
		.amdhsa_uses_dynamic_stack 0
		.amdhsa_enable_private_segment 0
		.amdhsa_system_sgpr_workgroup_id_x 1
		.amdhsa_system_sgpr_workgroup_id_y 0
		.amdhsa_system_sgpr_workgroup_id_z 1
		.amdhsa_system_sgpr_workgroup_info 0
		.amdhsa_system_vgpr_workitem_id 0
		.amdhsa_next_free_vgpr 12
		.amdhsa_next_free_sgpr 14
		.amdhsa_named_barrier_count 0
		.amdhsa_reserve_vcc 1
		.amdhsa_float_round_mode_32 0
		.amdhsa_float_round_mode_16_64 0
		.amdhsa_float_denorm_mode_32 3
		.amdhsa_float_denorm_mode_16_64 3
		.amdhsa_fp16_overflow 0
		.amdhsa_memory_ordered 1
		.amdhsa_forward_progress 1
		.amdhsa_inst_pref_size 3
		.amdhsa_round_robin_scheduling 0
		.amdhsa_exception_fp_ieee_invalid_op 0
		.amdhsa_exception_fp_denorm_src 0
		.amdhsa_exception_fp_ieee_div_zero 0
		.amdhsa_exception_fp_ieee_overflow 0
		.amdhsa_exception_fp_ieee_underflow 0
		.amdhsa_exception_fp_ieee_inexact 0
		.amdhsa_exception_int_div_zero 0
	.end_amdhsa_kernel
	.section	.text._ZL19rocblas_scal_kernelIiLi256E19rocblas_complex_numIfES1_fPKPS1_EviT3_lT4_lT_li,"axG",@progbits,_ZL19rocblas_scal_kernelIiLi256E19rocblas_complex_numIfES1_fPKPS1_EviT3_lT4_lT_li,comdat
.Lfunc_end67:
	.size	_ZL19rocblas_scal_kernelIiLi256E19rocblas_complex_numIfES1_fPKPS1_EviT3_lT4_lT_li, .Lfunc_end67-_ZL19rocblas_scal_kernelIiLi256E19rocblas_complex_numIfES1_fPKPS1_EviT3_lT4_lT_li
                                        ; -- End function
	.set _ZL19rocblas_scal_kernelIiLi256E19rocblas_complex_numIfES1_fPKPS1_EviT3_lT4_lT_li.num_vgpr, 12
	.set _ZL19rocblas_scal_kernelIiLi256E19rocblas_complex_numIfES1_fPKPS1_EviT3_lT4_lT_li.num_agpr, 0
	.set _ZL19rocblas_scal_kernelIiLi256E19rocblas_complex_numIfES1_fPKPS1_EviT3_lT4_lT_li.numbered_sgpr, 14
	.set _ZL19rocblas_scal_kernelIiLi256E19rocblas_complex_numIfES1_fPKPS1_EviT3_lT4_lT_li.num_named_barrier, 0
	.set _ZL19rocblas_scal_kernelIiLi256E19rocblas_complex_numIfES1_fPKPS1_EviT3_lT4_lT_li.private_seg_size, 0
	.set _ZL19rocblas_scal_kernelIiLi256E19rocblas_complex_numIfES1_fPKPS1_EviT3_lT4_lT_li.uses_vcc, 1
	.set _ZL19rocblas_scal_kernelIiLi256E19rocblas_complex_numIfES1_fPKPS1_EviT3_lT4_lT_li.uses_flat_scratch, 0
	.set _ZL19rocblas_scal_kernelIiLi256E19rocblas_complex_numIfES1_fPKPS1_EviT3_lT4_lT_li.has_dyn_sized_stack, 0
	.set _ZL19rocblas_scal_kernelIiLi256E19rocblas_complex_numIfES1_fPKPS1_EviT3_lT4_lT_li.has_recursion, 0
	.set _ZL19rocblas_scal_kernelIiLi256E19rocblas_complex_numIfES1_fPKPS1_EviT3_lT4_lT_li.has_indirect_call, 0
	.section	.AMDGPU.csdata,"",@progbits
; Kernel info:
; codeLenInByte = 328
; TotalNumSgprs: 16
; NumVgprs: 12
; ScratchSize: 0
; MemoryBound: 0
; FloatMode: 240
; IeeeMode: 1
; LDSByteSize: 0 bytes/workgroup (compile time only)
; SGPRBlocks: 0
; VGPRBlocks: 0
; NumSGPRsForWavesPerEU: 16
; NumVGPRsForWavesPerEU: 12
; NamedBarCnt: 0
; Occupancy: 16
; WaveLimiterHint : 1
; COMPUTE_PGM_RSRC2:SCRATCH_EN: 0
; COMPUTE_PGM_RSRC2:USER_SGPR: 2
; COMPUTE_PGM_RSRC2:TRAP_HANDLER: 0
; COMPUTE_PGM_RSRC2:TGID_X_EN: 1
; COMPUTE_PGM_RSRC2:TGID_Y_EN: 0
; COMPUTE_PGM_RSRC2:TGID_Z_EN: 1
; COMPUTE_PGM_RSRC2:TIDIG_COMP_CNT: 0
	.section	.text._ZL19rocblas_scal_kernelIlLi256E19rocblas_complex_numIfES1_PKfPKPS1_EviT3_lT4_lT_li,"axG",@progbits,_ZL19rocblas_scal_kernelIlLi256E19rocblas_complex_numIfES1_PKfPKPS1_EviT3_lT4_lT_li,comdat
	.globl	_ZL19rocblas_scal_kernelIlLi256E19rocblas_complex_numIfES1_PKfPKPS1_EviT3_lT4_lT_li ; -- Begin function _ZL19rocblas_scal_kernelIlLi256E19rocblas_complex_numIfES1_PKfPKPS1_EviT3_lT4_lT_li
	.p2align	8
	.type	_ZL19rocblas_scal_kernelIlLi256E19rocblas_complex_numIfES1_PKfPKPS1_EviT3_lT4_lT_li,@function
_ZL19rocblas_scal_kernelIlLi256E19rocblas_complex_numIfES1_PKfPKPS1_EviT3_lT4_lT_li: ; @_ZL19rocblas_scal_kernelIlLi256E19rocblas_complex_numIfES1_PKfPKPS1_EviT3_lT4_lT_li
; %bb.0:
	s_load_b32 s12, s[0:1], 0x38
	s_bfe_u32 s2, ttmp6, 0x40014
	s_lshr_b32 s3, ttmp7, 16
	s_add_co_i32 s2, s2, 1
	s_bfe_u32 s5, ttmp6, 0x40008
	s_mul_i32 s2, s3, s2
	s_getreg_b32 s4, hwreg(HW_REG_IB_STS2, 6, 4)
	s_add_co_i32 s5, s5, s2
	s_cmp_eq_u32 s4, 0
	s_cselect_b32 s2, s3, s5
	s_mov_b32 s3, 0
	s_wait_kmcnt 0x0
	s_cmp_ge_u32 s2, s12
	s_cbranch_scc1 .LBB68_5
; %bb.1:
	s_load_b64 s[6:7], s[0:1], 0x28
	s_bfe_u32 s5, ttmp6, 0x4000c
	s_and_b32 s8, ttmp6, 15
	s_add_co_i32 s5, s5, 1
	v_mov_b32_e32 v1, 0
	s_mul_i32 s5, ttmp9, s5
	s_delay_alu instid0(SALU_CYCLE_1) | instskip(SKIP_2) | instid1(SALU_CYCLE_1)
	s_add_co_i32 s8, s8, s5
	s_cmp_eq_u32 s4, 0
	s_cselect_b32 s4, ttmp9, s8
	v_lshl_or_b32 v0, s4, 8, v0
	s_wait_kmcnt 0x0
	s_delay_alu instid0(VALU_DEP_1)
	v_mul_u64_e32 v[2:3], s[6:7], v[0:1]
	s_clause 0x1
	s_load_b32 s13, s[0:1], 0x0
	s_load_b256 s[4:11], s[0:1], 0x8
	s_wait_kmcnt 0x0
	v_cmp_gt_u32_e32 vcc_lo, s13, v0
	s_lshl_b64 s[0:1], s[10:11], 3
	s_branch .LBB68_3
.LBB68_2:                               ;   in Loop: Header=BB68_3 Depth=1
	s_wait_xcnt 0x0
	s_or_b32 exec_lo, exec_lo, s10
	s_add_co_i32 s2, s2, 0x10000
	s_delay_alu instid0(SALU_CYCLE_1)
	s_cmp_lt_u32 s2, s12
	s_cbranch_scc0 .LBB68_5
.LBB68_3:                               ; =>This Inner Loop Header: Depth=1
	s_mul_u64 s[10:11], s[6:7], s[2:3]
	s_delay_alu instid0(SALU_CYCLE_1) | instskip(NEXT) | instid1(SALU_CYCLE_1)
	s_lshl_b64 s[10:11], s[10:11], 2
	s_add_nc_u64 s[10:11], s[4:5], s[10:11]
	global_load_b32 v0, v1, s[10:11]
	s_wait_loadcnt 0x0
	s_wait_xcnt 0x0
	v_readfirstlane_b32 s10, v0
	s_cmp_neq_f32 s10, 1.0
	s_cselect_b32 s10, -1, 0
	s_delay_alu instid0(SALU_CYCLE_1) | instskip(NEXT) | instid1(SALU_CYCLE_1)
	s_and_b32 s11, vcc_lo, s10
	s_and_saveexec_b32 s10, s11
	s_cbranch_execz .LBB68_2
; %bb.4:                                ;   in Loop: Header=BB68_3 Depth=1
	s_lshl_b64 s[14:15], s[2:3], 3
	s_delay_alu instid0(SALU_CYCLE_1) | instskip(SKIP_4) | instid1(SALU_CYCLE_1)
	s_add_nc_u64 s[14:15], s[8:9], s[14:15]
	s_load_b64 s[14:15], s[14:15], 0x0
	s_wait_kmcnt 0x0
	s_wait_xcnt 0x0
	s_add_nc_u64 s[14:15], s[14:15], s[0:1]
	v_lshl_add_u64 v[4:5], v[2:3], 3, s[14:15]
	flat_load_b64 v[6:7], v[4:5]
	s_wait_loadcnt_dscnt 0x0
	v_pk_mul_f32 v[8:9], v[6:7], 0 op_sel_hi:[1,0]
	s_delay_alu instid0(VALU_DEP_1) | instskip(SKIP_1) | instid1(VALU_DEP_2)
	v_pk_fma_f32 v[10:11], v[0:1], v[6:7], v[8:9] op_sel:[0,0,1] op_sel_hi:[0,1,0]
	v_pk_fma_f32 v[6:7], v[0:1], v[6:7], v[8:9] op_sel:[0,0,1] op_sel_hi:[1,1,0] neg_lo:[0,0,1] neg_hi:[0,0,1]
	v_mov_b32_e32 v7, v11
	flat_store_b64 v[4:5], v[6:7]
	s_branch .LBB68_2
.LBB68_5:
	s_endpgm
	.section	.rodata,"a",@progbits
	.p2align	6, 0x0
	.amdhsa_kernel _ZL19rocblas_scal_kernelIlLi256E19rocblas_complex_numIfES1_PKfPKPS1_EviT3_lT4_lT_li
		.amdhsa_group_segment_fixed_size 0
		.amdhsa_private_segment_fixed_size 0
		.amdhsa_kernarg_size 60
		.amdhsa_user_sgpr_count 2
		.amdhsa_user_sgpr_dispatch_ptr 0
		.amdhsa_user_sgpr_queue_ptr 0
		.amdhsa_user_sgpr_kernarg_segment_ptr 1
		.amdhsa_user_sgpr_dispatch_id 0
		.amdhsa_user_sgpr_kernarg_preload_length 0
		.amdhsa_user_sgpr_kernarg_preload_offset 0
		.amdhsa_user_sgpr_private_segment_size 0
		.amdhsa_wavefront_size32 1
		.amdhsa_uses_dynamic_stack 0
		.amdhsa_enable_private_segment 0
		.amdhsa_system_sgpr_workgroup_id_x 1
		.amdhsa_system_sgpr_workgroup_id_y 0
		.amdhsa_system_sgpr_workgroup_id_z 1
		.amdhsa_system_sgpr_workgroup_info 0
		.amdhsa_system_vgpr_workitem_id 0
		.amdhsa_next_free_vgpr 12
		.amdhsa_next_free_sgpr 16
		.amdhsa_named_barrier_count 0
		.amdhsa_reserve_vcc 1
		.amdhsa_float_round_mode_32 0
		.amdhsa_float_round_mode_16_64 0
		.amdhsa_float_denorm_mode_32 3
		.amdhsa_float_denorm_mode_16_64 3
		.amdhsa_fp16_overflow 0
		.amdhsa_memory_ordered 1
		.amdhsa_forward_progress 1
		.amdhsa_inst_pref_size 3
		.amdhsa_round_robin_scheduling 0
		.amdhsa_exception_fp_ieee_invalid_op 0
		.amdhsa_exception_fp_denorm_src 0
		.amdhsa_exception_fp_ieee_div_zero 0
		.amdhsa_exception_fp_ieee_overflow 0
		.amdhsa_exception_fp_ieee_underflow 0
		.amdhsa_exception_fp_ieee_inexact 0
		.amdhsa_exception_int_div_zero 0
	.end_amdhsa_kernel
	.section	.text._ZL19rocblas_scal_kernelIlLi256E19rocblas_complex_numIfES1_PKfPKPS1_EviT3_lT4_lT_li,"axG",@progbits,_ZL19rocblas_scal_kernelIlLi256E19rocblas_complex_numIfES1_PKfPKPS1_EviT3_lT4_lT_li,comdat
.Lfunc_end68:
	.size	_ZL19rocblas_scal_kernelIlLi256E19rocblas_complex_numIfES1_PKfPKPS1_EviT3_lT4_lT_li, .Lfunc_end68-_ZL19rocblas_scal_kernelIlLi256E19rocblas_complex_numIfES1_PKfPKPS1_EviT3_lT4_lT_li
                                        ; -- End function
	.set _ZL19rocblas_scal_kernelIlLi256E19rocblas_complex_numIfES1_PKfPKPS1_EviT3_lT4_lT_li.num_vgpr, 12
	.set _ZL19rocblas_scal_kernelIlLi256E19rocblas_complex_numIfES1_PKfPKPS1_EviT3_lT4_lT_li.num_agpr, 0
	.set _ZL19rocblas_scal_kernelIlLi256E19rocblas_complex_numIfES1_PKfPKPS1_EviT3_lT4_lT_li.numbered_sgpr, 16
	.set _ZL19rocblas_scal_kernelIlLi256E19rocblas_complex_numIfES1_PKfPKPS1_EviT3_lT4_lT_li.num_named_barrier, 0
	.set _ZL19rocblas_scal_kernelIlLi256E19rocblas_complex_numIfES1_PKfPKPS1_EviT3_lT4_lT_li.private_seg_size, 0
	.set _ZL19rocblas_scal_kernelIlLi256E19rocblas_complex_numIfES1_PKfPKPS1_EviT3_lT4_lT_li.uses_vcc, 1
	.set _ZL19rocblas_scal_kernelIlLi256E19rocblas_complex_numIfES1_PKfPKPS1_EviT3_lT4_lT_li.uses_flat_scratch, 0
	.set _ZL19rocblas_scal_kernelIlLi256E19rocblas_complex_numIfES1_PKfPKPS1_EviT3_lT4_lT_li.has_dyn_sized_stack, 0
	.set _ZL19rocblas_scal_kernelIlLi256E19rocblas_complex_numIfES1_PKfPKPS1_EviT3_lT4_lT_li.has_recursion, 0
	.set _ZL19rocblas_scal_kernelIlLi256E19rocblas_complex_numIfES1_PKfPKPS1_EviT3_lT4_lT_li.has_indirect_call, 0
	.section	.AMDGPU.csdata,"",@progbits
; Kernel info:
; codeLenInByte = 372
; TotalNumSgprs: 18
; NumVgprs: 12
; ScratchSize: 0
; MemoryBound: 0
; FloatMode: 240
; IeeeMode: 1
; LDSByteSize: 0 bytes/workgroup (compile time only)
; SGPRBlocks: 0
; VGPRBlocks: 0
; NumSGPRsForWavesPerEU: 18
; NumVGPRsForWavesPerEU: 12
; NamedBarCnt: 0
; Occupancy: 16
; WaveLimiterHint : 1
; COMPUTE_PGM_RSRC2:SCRATCH_EN: 0
; COMPUTE_PGM_RSRC2:USER_SGPR: 2
; COMPUTE_PGM_RSRC2:TRAP_HANDLER: 0
; COMPUTE_PGM_RSRC2:TGID_X_EN: 1
; COMPUTE_PGM_RSRC2:TGID_Y_EN: 0
; COMPUTE_PGM_RSRC2:TGID_Z_EN: 1
; COMPUTE_PGM_RSRC2:TIDIG_COMP_CNT: 0
	.section	.text._ZL19rocblas_scal_kernelIlLi256E19rocblas_complex_numIfES1_fPKPS1_EviT3_lT4_lT_li,"axG",@progbits,_ZL19rocblas_scal_kernelIlLi256E19rocblas_complex_numIfES1_fPKPS1_EviT3_lT4_lT_li,comdat
	.globl	_ZL19rocblas_scal_kernelIlLi256E19rocblas_complex_numIfES1_fPKPS1_EviT3_lT4_lT_li ; -- Begin function _ZL19rocblas_scal_kernelIlLi256E19rocblas_complex_numIfES1_fPKPS1_EviT3_lT4_lT_li
	.p2align	8
	.type	_ZL19rocblas_scal_kernelIlLi256E19rocblas_complex_numIfES1_fPKPS1_EviT3_lT4_lT_li,@function
_ZL19rocblas_scal_kernelIlLi256E19rocblas_complex_numIfES1_fPKPS1_EviT3_lT4_lT_li: ; @_ZL19rocblas_scal_kernelIlLi256E19rocblas_complex_numIfES1_fPKPS1_EviT3_lT4_lT_li
; %bb.0:
	s_load_b32 s8, s[0:1], 0x30
	s_bfe_u32 s2, ttmp6, 0x40014
	s_lshr_b32 s3, ttmp7, 16
	s_add_co_i32 s2, s2, 1
	s_bfe_u32 s5, ttmp6, 0x40008
	s_mul_i32 s4, s3, s2
	s_getreg_b32 s2, hwreg(HW_REG_IB_STS2, 6, 4)
	s_add_co_i32 s5, s5, s4
	s_cmp_eq_u32 s2, 0
	s_cselect_b32 s9, s3, s5
	s_wait_kmcnt 0x0
	s_cmp_ge_u32 s9, s8
	s_cbranch_scc1 .LBB69_5
; %bb.1:
	s_load_b64 s[4:5], s[0:1], 0x20
	s_bfe_u32 s3, ttmp6, 0x4000c
	s_and_b32 s6, ttmp6, 15
	s_add_co_i32 s3, s3, 1
	v_mov_b32_e32 v3, 0
	s_mul_i32 s3, ttmp9, s3
	s_delay_alu instid0(SALU_CYCLE_1) | instskip(SKIP_2) | instid1(SALU_CYCLE_1)
	s_add_co_i32 s6, s6, s3
	s_cmp_eq_u32 s2, 0
	s_cselect_b32 s2, ttmp9, s6
	v_lshl_or_b32 v2, s2, 8, v0
	s_wait_kmcnt 0x0
	s_delay_alu instid0(VALU_DEP_1)
	v_mul_u64_e32 v[0:1], s[4:5], v[2:3]
	s_clause 0x1
	s_load_b64 s[2:3], s[0:1], 0x0
	s_load_b128 s[4:7], s[0:1], 0x10
	s_wait_kmcnt 0x0
	s_cmp_neq_f32 s3, 1.0
	v_cmp_gt_u32_e32 vcc_lo, s2, v2
	s_mov_b32 s2, s3
	s_cselect_b32 s0, -1, 0
	s_delay_alu instid0(SALU_CYCLE_1)
	s_and_b32 s10, vcc_lo, s0
	s_lshl_b64 s[0:1], s[6:7], 3
	s_branch .LBB69_3
.LBB69_2:                               ;   in Loop: Header=BB69_3 Depth=1
	s_wait_xcnt 0x0
	s_or_b32 exec_lo, exec_lo, s6
	s_add_co_i32 s9, s9, 0x10000
	s_delay_alu instid0(SALU_CYCLE_1)
	s_cmp_lt_u32 s9, s8
	s_cbranch_scc0 .LBB69_5
.LBB69_3:                               ; =>This Inner Loop Header: Depth=1
	s_and_saveexec_b32 s6, s10
	s_cbranch_execz .LBB69_2
; %bb.4:                                ;   in Loop: Header=BB69_3 Depth=1
	s_load_b64 s[12:13], s[4:5], s9 offset:0x0 scale_offset
	v_mov_b64_e32 v[8:9], s[2:3]
	s_wait_kmcnt 0x0
	s_add_nc_u64 s[12:13], s[12:13], s[0:1]
	s_delay_alu instid0(VALU_DEP_3) | instid1(SALU_CYCLE_1)
	v_lshl_add_u64 v[2:3], v[0:1], 3, s[12:13]
	flat_load_b64 v[4:5], v[2:3]
	s_wait_loadcnt_dscnt 0x0
	v_pk_mul_f32 v[6:7], v[4:5], 0 op_sel_hi:[1,0]
	s_delay_alu instid0(VALU_DEP_1) | instskip(SKIP_1) | instid1(VALU_DEP_2)
	v_pk_fma_f32 v[10:11], v[8:9], v[4:5], v[6:7] op_sel:[0,0,1] op_sel_hi:[1,1,0]
	v_pk_fma_f32 v[4:5], v[8:9], v[4:5], v[6:7] op_sel:[0,0,1] op_sel_hi:[1,1,0] neg_lo:[0,0,1] neg_hi:[0,0,1]
	v_mov_b32_e32 v5, v11
	flat_store_b64 v[2:3], v[4:5]
	s_branch .LBB69_2
.LBB69_5:
	s_endpgm
	.section	.rodata,"a",@progbits
	.p2align	6, 0x0
	.amdhsa_kernel _ZL19rocblas_scal_kernelIlLi256E19rocblas_complex_numIfES1_fPKPS1_EviT3_lT4_lT_li
		.amdhsa_group_segment_fixed_size 0
		.amdhsa_private_segment_fixed_size 0
		.amdhsa_kernarg_size 52
		.amdhsa_user_sgpr_count 2
		.amdhsa_user_sgpr_dispatch_ptr 0
		.amdhsa_user_sgpr_queue_ptr 0
		.amdhsa_user_sgpr_kernarg_segment_ptr 1
		.amdhsa_user_sgpr_dispatch_id 0
		.amdhsa_user_sgpr_kernarg_preload_length 0
		.amdhsa_user_sgpr_kernarg_preload_offset 0
		.amdhsa_user_sgpr_private_segment_size 0
		.amdhsa_wavefront_size32 1
		.amdhsa_uses_dynamic_stack 0
		.amdhsa_enable_private_segment 0
		.amdhsa_system_sgpr_workgroup_id_x 1
		.amdhsa_system_sgpr_workgroup_id_y 0
		.amdhsa_system_sgpr_workgroup_id_z 1
		.amdhsa_system_sgpr_workgroup_info 0
		.amdhsa_system_vgpr_workitem_id 0
		.amdhsa_next_free_vgpr 12
		.amdhsa_next_free_sgpr 14
		.amdhsa_named_barrier_count 0
		.amdhsa_reserve_vcc 1
		.amdhsa_float_round_mode_32 0
		.amdhsa_float_round_mode_16_64 0
		.amdhsa_float_denorm_mode_32 3
		.amdhsa_float_denorm_mode_16_64 3
		.amdhsa_fp16_overflow 0
		.amdhsa_memory_ordered 1
		.amdhsa_forward_progress 1
		.amdhsa_inst_pref_size 3
		.amdhsa_round_robin_scheduling 0
		.amdhsa_exception_fp_ieee_invalid_op 0
		.amdhsa_exception_fp_denorm_src 0
		.amdhsa_exception_fp_ieee_div_zero 0
		.amdhsa_exception_fp_ieee_overflow 0
		.amdhsa_exception_fp_ieee_underflow 0
		.amdhsa_exception_fp_ieee_inexact 0
		.amdhsa_exception_int_div_zero 0
	.end_amdhsa_kernel
	.section	.text._ZL19rocblas_scal_kernelIlLi256E19rocblas_complex_numIfES1_fPKPS1_EviT3_lT4_lT_li,"axG",@progbits,_ZL19rocblas_scal_kernelIlLi256E19rocblas_complex_numIfES1_fPKPS1_EviT3_lT4_lT_li,comdat
.Lfunc_end69:
	.size	_ZL19rocblas_scal_kernelIlLi256E19rocblas_complex_numIfES1_fPKPS1_EviT3_lT4_lT_li, .Lfunc_end69-_ZL19rocblas_scal_kernelIlLi256E19rocblas_complex_numIfES1_fPKPS1_EviT3_lT4_lT_li
                                        ; -- End function
	.set _ZL19rocblas_scal_kernelIlLi256E19rocblas_complex_numIfES1_fPKPS1_EviT3_lT4_lT_li.num_vgpr, 12
	.set _ZL19rocblas_scal_kernelIlLi256E19rocblas_complex_numIfES1_fPKPS1_EviT3_lT4_lT_li.num_agpr, 0
	.set _ZL19rocblas_scal_kernelIlLi256E19rocblas_complex_numIfES1_fPKPS1_EviT3_lT4_lT_li.numbered_sgpr, 14
	.set _ZL19rocblas_scal_kernelIlLi256E19rocblas_complex_numIfES1_fPKPS1_EviT3_lT4_lT_li.num_named_barrier, 0
	.set _ZL19rocblas_scal_kernelIlLi256E19rocblas_complex_numIfES1_fPKPS1_EviT3_lT4_lT_li.private_seg_size, 0
	.set _ZL19rocblas_scal_kernelIlLi256E19rocblas_complex_numIfES1_fPKPS1_EviT3_lT4_lT_li.uses_vcc, 1
	.set _ZL19rocblas_scal_kernelIlLi256E19rocblas_complex_numIfES1_fPKPS1_EviT3_lT4_lT_li.uses_flat_scratch, 0
	.set _ZL19rocblas_scal_kernelIlLi256E19rocblas_complex_numIfES1_fPKPS1_EviT3_lT4_lT_li.has_dyn_sized_stack, 0
	.set _ZL19rocblas_scal_kernelIlLi256E19rocblas_complex_numIfES1_fPKPS1_EviT3_lT4_lT_li.has_recursion, 0
	.set _ZL19rocblas_scal_kernelIlLi256E19rocblas_complex_numIfES1_fPKPS1_EviT3_lT4_lT_li.has_indirect_call, 0
	.section	.AMDGPU.csdata,"",@progbits
; Kernel info:
; codeLenInByte = 324
; TotalNumSgprs: 16
; NumVgprs: 12
; ScratchSize: 0
; MemoryBound: 0
; FloatMode: 240
; IeeeMode: 1
; LDSByteSize: 0 bytes/workgroup (compile time only)
; SGPRBlocks: 0
; VGPRBlocks: 0
; NumSGPRsForWavesPerEU: 16
; NumVGPRsForWavesPerEU: 12
; NamedBarCnt: 0
; Occupancy: 16
; WaveLimiterHint : 1
; COMPUTE_PGM_RSRC2:SCRATCH_EN: 0
; COMPUTE_PGM_RSRC2:USER_SGPR: 2
; COMPUTE_PGM_RSRC2:TRAP_HANDLER: 0
; COMPUTE_PGM_RSRC2:TGID_X_EN: 1
; COMPUTE_PGM_RSRC2:TGID_Y_EN: 0
; COMPUTE_PGM_RSRC2:TGID_Z_EN: 1
; COMPUTE_PGM_RSRC2:TIDIG_COMP_CNT: 0
	.section	.text._ZL22rocblas_sscal_2_kernelILi256E19rocblas_complex_numIdES1_PKdPKPS1_EviT2_lT3_lli,"axG",@progbits,_ZL22rocblas_sscal_2_kernelILi256E19rocblas_complex_numIdES1_PKdPKPS1_EviT2_lT3_lli,comdat
	.globl	_ZL22rocblas_sscal_2_kernelILi256E19rocblas_complex_numIdES1_PKdPKPS1_EviT2_lT3_lli ; -- Begin function _ZL22rocblas_sscal_2_kernelILi256E19rocblas_complex_numIdES1_PKdPKPS1_EviT2_lT3_lli
	.p2align	8
	.type	_ZL22rocblas_sscal_2_kernelILi256E19rocblas_complex_numIdES1_PKdPKPS1_EviT2_lT3_lli,@function
_ZL22rocblas_sscal_2_kernelILi256E19rocblas_complex_numIdES1_PKdPKPS1_EviT2_lT3_lli: ; @_ZL22rocblas_sscal_2_kernelILi256E19rocblas_complex_numIdES1_PKdPKPS1_EviT2_lT3_lli
; %bb.0:
	s_load_b32 s12, s[0:1], 0x30
	s_bfe_u32 s2, ttmp6, 0x40014
	s_lshr_b32 s3, ttmp7, 16
	s_add_co_i32 s2, s2, 1
	s_bfe_u32 s4, ttmp6, 0x40008
	s_mul_i32 s2, s3, s2
	s_getreg_b32 s13, hwreg(HW_REG_IB_STS2, 6, 4)
	s_add_co_i32 s4, s4, s2
	s_cmp_eq_u32 s13, 0
	s_cselect_b32 s2, s3, s4
	s_mov_b32 s3, 0
	s_wait_kmcnt 0x0
	s_cmp_ge_u32 s2, s12
	s_cbranch_scc1 .LBB70_9
; %bb.1:
	s_load_b32 s14, s[0:1], 0x0
	s_bfe_u32 s15, ttmp6, 0x4000c
	s_load_b256 s[4:11], s[0:1], 0x8
	s_add_co_i32 s15, s15, 1
	s_wait_xcnt 0x0
	s_and_b32 s0, ttmp6, 15
	s_mul_i32 s1, ttmp9, s15
	v_dual_mov_b32 v1, 0 :: v_dual_lshlrev_b32 v0, 1, v0
	s_add_co_i32 s0, s0, s1
	s_cmp_eq_u32 s13, 0
	s_cselect_b32 s0, ttmp9, s0
	s_delay_alu instid0(VALU_DEP_1) | instid1(SALU_CYCLE_1)
	v_lshl_or_b32 v0, s0, 9, v0
	s_delay_alu instid0(VALU_DEP_1)
	v_or_b32_e32 v2, 1, v0
	s_wait_kmcnt 0x0
	s_bitcmp1_b32 s14, 0
	s_cselect_b32 s1, -1, 0
	s_add_co_i32 s0, s14, -1
	s_lshl_b64 s[10:11], s[10:11], 4
	v_cmp_eq_u32_e32 vcc_lo, s0, v0
	v_cmp_gt_u32_e64 s0, s14, v2
	s_and_b32 s1, s1, vcc_lo
	s_branch .LBB70_4
.LBB70_2:                               ;   in Loop: Header=BB70_4 Depth=1
	s_wait_xcnt 0x0
	s_or_b32 exec_lo, exec_lo, s13
.LBB70_3:                               ;   in Loop: Header=BB70_4 Depth=1
	s_add_co_i32 s2, s2, 0x10000
	s_delay_alu instid0(SALU_CYCLE_1)
	s_cmp_lt_u32 s2, s12
	s_cbranch_scc0 .LBB70_9
.LBB70_4:                               ; =>This Inner Loop Header: Depth=1
	s_wait_xcnt 0x0
	s_mul_u64 s[14:15], s[6:7], s[2:3]
	s_delay_alu instid0(SALU_CYCLE_1) | instskip(NEXT) | instid1(SALU_CYCLE_1)
	s_lshl_b64 s[14:15], s[14:15], 3
	s_add_nc_u64 s[14:15], s[4:5], s[14:15]
	global_load_b64 v[2:3], v1, s[14:15]
	s_wait_loadcnt 0x0
	v_cmp_eq_f64_e32 vcc_lo, 1.0, v[2:3]
	s_cbranch_vccnz .LBB70_3
; %bb.5:                                ;   in Loop: Header=BB70_4 Depth=1
	s_wait_xcnt 0x0
	s_lshl_b64 s[14:15], s[2:3], 3
	s_delay_alu instid0(SALU_CYCLE_1) | instskip(SKIP_4) | instid1(SALU_CYCLE_1)
	s_add_nc_u64 s[14:15], s[8:9], s[14:15]
	s_load_b64 s[14:15], s[14:15], 0x0
	s_wait_kmcnt 0x0
	s_wait_xcnt 0x0
	s_add_nc_u64 s[14:15], s[14:15], s[10:11]
	v_lshl_add_u64 v[4:5], v[0:1], 4, s[14:15]
	s_and_saveexec_b32 s13, s0
	s_cbranch_execz .LBB70_7
; %bb.6:                                ;   in Loop: Header=BB70_4 Depth=1
	s_clause 0x1
	flat_load_b128 v[6:9], v[4:5]
	flat_load_b128 v[10:13], v[4:5] offset:16
	s_wait_loadcnt_dscnt 0x101
	v_mul_f64_e32 v[16:17], 0, v[8:9]
	v_mul_f64_e32 v[14:15], v[2:3], v[8:9]
	s_wait_loadcnt_dscnt 0x0
	v_mul_f64_e32 v[18:19], 0, v[12:13]
	v_mul_f64_e32 v[8:9], v[2:3], v[12:13]
	s_delay_alu instid0(VALU_DEP_4) | instskip(NEXT) | instid1(VALU_DEP_4)
	v_fma_f64 v[12:13], v[2:3], v[6:7], -v[16:17]
	v_fmac_f64_e32 v[14:15], 0, v[6:7]
	s_delay_alu instid0(VALU_DEP_4) | instskip(NEXT) | instid1(VALU_DEP_4)
	v_fma_f64 v[6:7], v[2:3], v[10:11], -v[18:19]
	v_fmac_f64_e32 v[8:9], 0, v[10:11]
	s_clause 0x1
	flat_store_b128 v[4:5], v[12:15]
	flat_store_b128 v[4:5], v[6:9] offset:16
.LBB70_7:                               ;   in Loop: Header=BB70_4 Depth=1
	s_wait_xcnt 0x0
	s_or_b32 exec_lo, exec_lo, s13
	s_and_saveexec_b32 s13, s1
	s_cbranch_execz .LBB70_2
; %bb.8:                                ;   in Loop: Header=BB70_4 Depth=1
	flat_load_b128 v[6:9], v[4:5]
	s_wait_loadcnt_dscnt 0x0
	v_mul_f64_e32 v[12:13], 0, v[8:9]
	v_mul_f64_e32 v[10:11], v[2:3], v[8:9]
	s_delay_alu instid0(VALU_DEP_2) | instskip(NEXT) | instid1(VALU_DEP_2)
	v_fma_f64 v[8:9], v[2:3], v[6:7], -v[12:13]
	v_fmac_f64_e32 v[10:11], 0, v[6:7]
	flat_store_b128 v[4:5], v[8:11]
	s_branch .LBB70_2
.LBB70_9:
	s_endpgm
	.section	.rodata,"a",@progbits
	.p2align	6, 0x0
	.amdhsa_kernel _ZL22rocblas_sscal_2_kernelILi256E19rocblas_complex_numIdES1_PKdPKPS1_EviT2_lT3_lli
		.amdhsa_group_segment_fixed_size 0
		.amdhsa_private_segment_fixed_size 0
		.amdhsa_kernarg_size 52
		.amdhsa_user_sgpr_count 2
		.amdhsa_user_sgpr_dispatch_ptr 0
		.amdhsa_user_sgpr_queue_ptr 0
		.amdhsa_user_sgpr_kernarg_segment_ptr 1
		.amdhsa_user_sgpr_dispatch_id 0
		.amdhsa_user_sgpr_kernarg_preload_length 0
		.amdhsa_user_sgpr_kernarg_preload_offset 0
		.amdhsa_user_sgpr_private_segment_size 0
		.amdhsa_wavefront_size32 1
		.amdhsa_uses_dynamic_stack 0
		.amdhsa_enable_private_segment 0
		.amdhsa_system_sgpr_workgroup_id_x 1
		.amdhsa_system_sgpr_workgroup_id_y 0
		.amdhsa_system_sgpr_workgroup_id_z 1
		.amdhsa_system_sgpr_workgroup_info 0
		.amdhsa_system_vgpr_workitem_id 0
		.amdhsa_next_free_vgpr 20
		.amdhsa_next_free_sgpr 16
		.amdhsa_named_barrier_count 0
		.amdhsa_reserve_vcc 1
		.amdhsa_float_round_mode_32 0
		.amdhsa_float_round_mode_16_64 0
		.amdhsa_float_denorm_mode_32 3
		.amdhsa_float_denorm_mode_16_64 3
		.amdhsa_fp16_overflow 0
		.amdhsa_memory_ordered 1
		.amdhsa_forward_progress 1
		.amdhsa_inst_pref_size 4
		.amdhsa_round_robin_scheduling 0
		.amdhsa_exception_fp_ieee_invalid_op 0
		.amdhsa_exception_fp_denorm_src 0
		.amdhsa_exception_fp_ieee_div_zero 0
		.amdhsa_exception_fp_ieee_overflow 0
		.amdhsa_exception_fp_ieee_underflow 0
		.amdhsa_exception_fp_ieee_inexact 0
		.amdhsa_exception_int_div_zero 0
	.end_amdhsa_kernel
	.section	.text._ZL22rocblas_sscal_2_kernelILi256E19rocblas_complex_numIdES1_PKdPKPS1_EviT2_lT3_lli,"axG",@progbits,_ZL22rocblas_sscal_2_kernelILi256E19rocblas_complex_numIdES1_PKdPKPS1_EviT2_lT3_lli,comdat
.Lfunc_end70:
	.size	_ZL22rocblas_sscal_2_kernelILi256E19rocblas_complex_numIdES1_PKdPKPS1_EviT2_lT3_lli, .Lfunc_end70-_ZL22rocblas_sscal_2_kernelILi256E19rocblas_complex_numIdES1_PKdPKPS1_EviT2_lT3_lli
                                        ; -- End function
	.set _ZL22rocblas_sscal_2_kernelILi256E19rocblas_complex_numIdES1_PKdPKPS1_EviT2_lT3_lli.num_vgpr, 20
	.set _ZL22rocblas_sscal_2_kernelILi256E19rocblas_complex_numIdES1_PKdPKPS1_EviT2_lT3_lli.num_agpr, 0
	.set _ZL22rocblas_sscal_2_kernelILi256E19rocblas_complex_numIdES1_PKdPKPS1_EviT2_lT3_lli.numbered_sgpr, 16
	.set _ZL22rocblas_sscal_2_kernelILi256E19rocblas_complex_numIdES1_PKdPKPS1_EviT2_lT3_lli.num_named_barrier, 0
	.set _ZL22rocblas_sscal_2_kernelILi256E19rocblas_complex_numIdES1_PKdPKPS1_EviT2_lT3_lli.private_seg_size, 0
	.set _ZL22rocblas_sscal_2_kernelILi256E19rocblas_complex_numIdES1_PKdPKPS1_EviT2_lT3_lli.uses_vcc, 1
	.set _ZL22rocblas_sscal_2_kernelILi256E19rocblas_complex_numIdES1_PKdPKPS1_EviT2_lT3_lli.uses_flat_scratch, 1
	.set _ZL22rocblas_sscal_2_kernelILi256E19rocblas_complex_numIdES1_PKdPKPS1_EviT2_lT3_lli.has_dyn_sized_stack, 0
	.set _ZL22rocblas_sscal_2_kernelILi256E19rocblas_complex_numIdES1_PKdPKPS1_EviT2_lT3_lli.has_recursion, 0
	.set _ZL22rocblas_sscal_2_kernelILi256E19rocblas_complex_numIdES1_PKdPKPS1_EviT2_lT3_lli.has_indirect_call, 0
	.section	.AMDGPU.csdata,"",@progbits
; Kernel info:
; codeLenInByte = 500
; TotalNumSgprs: 18
; NumVgprs: 20
; ScratchSize: 0
; MemoryBound: 0
; FloatMode: 240
; IeeeMode: 1
; LDSByteSize: 0 bytes/workgroup (compile time only)
; SGPRBlocks: 0
; VGPRBlocks: 1
; NumSGPRsForWavesPerEU: 18
; NumVGPRsForWavesPerEU: 20
; NamedBarCnt: 0
; Occupancy: 16
; WaveLimiterHint : 1
; COMPUTE_PGM_RSRC2:SCRATCH_EN: 0
; COMPUTE_PGM_RSRC2:USER_SGPR: 2
; COMPUTE_PGM_RSRC2:TRAP_HANDLER: 0
; COMPUTE_PGM_RSRC2:TGID_X_EN: 1
; COMPUTE_PGM_RSRC2:TGID_Y_EN: 0
; COMPUTE_PGM_RSRC2:TGID_Z_EN: 1
; COMPUTE_PGM_RSRC2:TIDIG_COMP_CNT: 0
	.section	.text._ZL22rocblas_sscal_2_kernelILi256E19rocblas_complex_numIdES1_dPKPS1_EviT2_lT3_lli,"axG",@progbits,_ZL22rocblas_sscal_2_kernelILi256E19rocblas_complex_numIdES1_dPKPS1_EviT2_lT3_lli,comdat
	.globl	_ZL22rocblas_sscal_2_kernelILi256E19rocblas_complex_numIdES1_dPKPS1_EviT2_lT3_lli ; -- Begin function _ZL22rocblas_sscal_2_kernelILi256E19rocblas_complex_numIdES1_dPKPS1_EviT2_lT3_lli
	.p2align	8
	.type	_ZL22rocblas_sscal_2_kernelILi256E19rocblas_complex_numIdES1_dPKPS1_EviT2_lT3_lli,@function
_ZL22rocblas_sscal_2_kernelILi256E19rocblas_complex_numIdES1_dPKPS1_EviT2_lT3_lli: ; @_ZL22rocblas_sscal_2_kernelILi256E19rocblas_complex_numIdES1_dPKPS1_EviT2_lT3_lli
; %bb.0:
	s_load_b32 s8, s[0:1], 0x30
	s_bfe_u32 s2, ttmp6, 0x40014
	s_lshr_b32 s3, ttmp7, 16
	s_add_co_i32 s2, s2, 1
	s_bfe_u32 s4, ttmp6, 0x40008
	s_mul_i32 s2, s3, s2
	s_getreg_b32 s10, hwreg(HW_REG_IB_STS2, 6, 4)
	s_add_co_i32 s4, s4, s2
	s_cmp_eq_u32 s10, 0
	s_cselect_b32 s9, s3, s4
	s_wait_kmcnt 0x0
	s_cmp_ge_u32 s9, s8
	s_cbranch_scc1 .LBB71_9
; %bb.1:
	s_load_b64 s[2:3], s[0:1], 0x8
	s_bfe_u32 s12, ttmp6, 0x4000c
	s_clause 0x1
	s_load_b32 s11, s[0:1], 0x0
	s_load_b128 s[4:7], s[0:1], 0x18
	s_add_co_i32 s12, s12, 1
	s_wait_xcnt 0x0
	s_and_b32 s0, ttmp6, 15
	s_mul_i32 s1, ttmp9, s12
	v_dual_mov_b32 v1, 0 :: v_dual_lshlrev_b32 v0, 1, v0
	s_add_co_i32 s0, s0, s1
	s_cmp_eq_u32 s10, 0
	s_cselect_b32 s0, ttmp9, s0
	s_delay_alu instid0(VALU_DEP_1) | instid1(SALU_CYCLE_1)
	v_lshl_or_b32 v0, s0, 9, v0
	s_delay_alu instid0(VALU_DEP_1)
	v_or_b32_e32 v2, 1, v0
	s_wait_kmcnt 0x0
	v_cmp_neq_f64_e64 s1, s[2:3], 1.0
	s_bitcmp1_b32 s11, 0
	s_cselect_b32 s10, -1, 0
	s_add_co_i32 s0, s11, -1
	s_lshl_b64 s[6:7], s[6:7], 4
	v_cmp_eq_u32_e32 vcc_lo, s0, v0
	v_cmp_gt_u32_e64 s0, s11, v2
	s_and_b32 s10, s10, vcc_lo
	s_branch .LBB71_4
.LBB71_2:                               ;   in Loop: Header=BB71_4 Depth=1
	s_wait_xcnt 0x0
	s_or_b32 exec_lo, exec_lo, s11
.LBB71_3:                               ;   in Loop: Header=BB71_4 Depth=1
	s_add_co_i32 s9, s9, 0x10000
	s_delay_alu instid0(SALU_CYCLE_1)
	s_cmp_lt_u32 s9, s8
	s_cbranch_scc0 .LBB71_9
.LBB71_4:                               ; =>This Inner Loop Header: Depth=1
	s_and_not1_b32 vcc_lo, exec_lo, s1
	s_cbranch_vccnz .LBB71_3
; %bb.5:                                ;   in Loop: Header=BB71_4 Depth=1
	s_load_b64 s[12:13], s[4:5], s9 offset:0x0 scale_offset
	s_wait_kmcnt 0x0
	s_add_nc_u64 s[12:13], s[12:13], s[6:7]
	s_delay_alu instid0(SALU_CYCLE_1)
	v_lshl_add_u64 v[2:3], v[0:1], 4, s[12:13]
	s_and_saveexec_b32 s11, s0
	s_cbranch_execz .LBB71_7
; %bb.6:                                ;   in Loop: Header=BB71_4 Depth=1
	s_clause 0x1
	flat_load_b128 v[4:7], v[2:3]
	flat_load_b128 v[8:11], v[2:3] offset:16
	s_wait_loadcnt_dscnt 0x101
	v_mul_f64_e32 v[14:15], 0, v[6:7]
	v_mul_f64_e32 v[12:13], s[2:3], v[6:7]
	s_wait_loadcnt_dscnt 0x0
	v_mul_f64_e32 v[16:17], 0, v[10:11]
	v_mul_f64_e32 v[6:7], s[2:3], v[10:11]
	s_delay_alu instid0(VALU_DEP_4) | instskip(NEXT) | instid1(VALU_DEP_4)
	v_fma_f64 v[10:11], s[2:3], v[4:5], -v[14:15]
	v_fmac_f64_e32 v[12:13], 0, v[4:5]
	s_delay_alu instid0(VALU_DEP_4) | instskip(NEXT) | instid1(VALU_DEP_4)
	v_fma_f64 v[4:5], s[2:3], v[8:9], -v[16:17]
	v_fmac_f64_e32 v[6:7], 0, v[8:9]
	s_clause 0x1
	flat_store_b128 v[2:3], v[10:13]
	flat_store_b128 v[2:3], v[4:7] offset:16
.LBB71_7:                               ;   in Loop: Header=BB71_4 Depth=1
	s_wait_xcnt 0x0
	s_or_b32 exec_lo, exec_lo, s11
	s_and_saveexec_b32 s11, s10
	s_cbranch_execz .LBB71_2
; %bb.8:                                ;   in Loop: Header=BB71_4 Depth=1
	flat_load_b128 v[4:7], v[2:3]
	s_wait_loadcnt_dscnt 0x0
	v_mul_f64_e32 v[10:11], 0, v[6:7]
	v_mul_f64_e32 v[8:9], s[2:3], v[6:7]
	s_delay_alu instid0(VALU_DEP_2) | instskip(NEXT) | instid1(VALU_DEP_2)
	v_fma_f64 v[6:7], s[2:3], v[4:5], -v[10:11]
	v_fmac_f64_e32 v[8:9], 0, v[4:5]
	flat_store_b128 v[2:3], v[6:9]
	s_branch .LBB71_2
.LBB71_9:
	s_endpgm
	.section	.rodata,"a",@progbits
	.p2align	6, 0x0
	.amdhsa_kernel _ZL22rocblas_sscal_2_kernelILi256E19rocblas_complex_numIdES1_dPKPS1_EviT2_lT3_lli
		.amdhsa_group_segment_fixed_size 0
		.amdhsa_private_segment_fixed_size 0
		.amdhsa_kernarg_size 52
		.amdhsa_user_sgpr_count 2
		.amdhsa_user_sgpr_dispatch_ptr 0
		.amdhsa_user_sgpr_queue_ptr 0
		.amdhsa_user_sgpr_kernarg_segment_ptr 1
		.amdhsa_user_sgpr_dispatch_id 0
		.amdhsa_user_sgpr_kernarg_preload_length 0
		.amdhsa_user_sgpr_kernarg_preload_offset 0
		.amdhsa_user_sgpr_private_segment_size 0
		.amdhsa_wavefront_size32 1
		.amdhsa_uses_dynamic_stack 0
		.amdhsa_enable_private_segment 0
		.amdhsa_system_sgpr_workgroup_id_x 1
		.amdhsa_system_sgpr_workgroup_id_y 0
		.amdhsa_system_sgpr_workgroup_id_z 1
		.amdhsa_system_sgpr_workgroup_info 0
		.amdhsa_system_vgpr_workitem_id 0
		.amdhsa_next_free_vgpr 18
		.amdhsa_next_free_sgpr 14
		.amdhsa_named_barrier_count 0
		.amdhsa_reserve_vcc 1
		.amdhsa_float_round_mode_32 0
		.amdhsa_float_round_mode_16_64 0
		.amdhsa_float_denorm_mode_32 3
		.amdhsa_float_denorm_mode_16_64 3
		.amdhsa_fp16_overflow 0
		.amdhsa_memory_ordered 1
		.amdhsa_forward_progress 1
		.amdhsa_inst_pref_size 4
		.amdhsa_round_robin_scheduling 0
		.amdhsa_exception_fp_ieee_invalid_op 0
		.amdhsa_exception_fp_denorm_src 0
		.amdhsa_exception_fp_ieee_div_zero 0
		.amdhsa_exception_fp_ieee_overflow 0
		.amdhsa_exception_fp_ieee_underflow 0
		.amdhsa_exception_fp_ieee_inexact 0
		.amdhsa_exception_int_div_zero 0
	.end_amdhsa_kernel
	.section	.text._ZL22rocblas_sscal_2_kernelILi256E19rocblas_complex_numIdES1_dPKPS1_EviT2_lT3_lli,"axG",@progbits,_ZL22rocblas_sscal_2_kernelILi256E19rocblas_complex_numIdES1_dPKPS1_EviT2_lT3_lli,comdat
.Lfunc_end71:
	.size	_ZL22rocblas_sscal_2_kernelILi256E19rocblas_complex_numIdES1_dPKPS1_EviT2_lT3_lli, .Lfunc_end71-_ZL22rocblas_sscal_2_kernelILi256E19rocblas_complex_numIdES1_dPKPS1_EviT2_lT3_lli
                                        ; -- End function
	.set _ZL22rocblas_sscal_2_kernelILi256E19rocblas_complex_numIdES1_dPKPS1_EviT2_lT3_lli.num_vgpr, 18
	.set _ZL22rocblas_sscal_2_kernelILi256E19rocblas_complex_numIdES1_dPKPS1_EviT2_lT3_lli.num_agpr, 0
	.set _ZL22rocblas_sscal_2_kernelILi256E19rocblas_complex_numIdES1_dPKPS1_EviT2_lT3_lli.numbered_sgpr, 14
	.set _ZL22rocblas_sscal_2_kernelILi256E19rocblas_complex_numIdES1_dPKPS1_EviT2_lT3_lli.num_named_barrier, 0
	.set _ZL22rocblas_sscal_2_kernelILi256E19rocblas_complex_numIdES1_dPKPS1_EviT2_lT3_lli.private_seg_size, 0
	.set _ZL22rocblas_sscal_2_kernelILi256E19rocblas_complex_numIdES1_dPKPS1_EviT2_lT3_lli.uses_vcc, 1
	.set _ZL22rocblas_sscal_2_kernelILi256E19rocblas_complex_numIdES1_dPKPS1_EviT2_lT3_lli.uses_flat_scratch, 1
	.set _ZL22rocblas_sscal_2_kernelILi256E19rocblas_complex_numIdES1_dPKPS1_EviT2_lT3_lli.has_dyn_sized_stack, 0
	.set _ZL22rocblas_sscal_2_kernelILi256E19rocblas_complex_numIdES1_dPKPS1_EviT2_lT3_lli.has_recursion, 0
	.set _ZL22rocblas_sscal_2_kernelILi256E19rocblas_complex_numIdES1_dPKPS1_EviT2_lT3_lli.has_indirect_call, 0
	.section	.AMDGPU.csdata,"",@progbits
; Kernel info:
; codeLenInByte = 464
; TotalNumSgprs: 16
; NumVgprs: 18
; ScratchSize: 0
; MemoryBound: 0
; FloatMode: 240
; IeeeMode: 1
; LDSByteSize: 0 bytes/workgroup (compile time only)
; SGPRBlocks: 0
; VGPRBlocks: 1
; NumSGPRsForWavesPerEU: 16
; NumVGPRsForWavesPerEU: 18
; NamedBarCnt: 0
; Occupancy: 16
; WaveLimiterHint : 1
; COMPUTE_PGM_RSRC2:SCRATCH_EN: 0
; COMPUTE_PGM_RSRC2:USER_SGPR: 2
; COMPUTE_PGM_RSRC2:TRAP_HANDLER: 0
; COMPUTE_PGM_RSRC2:TGID_X_EN: 1
; COMPUTE_PGM_RSRC2:TGID_Y_EN: 0
; COMPUTE_PGM_RSRC2:TGID_Z_EN: 1
; COMPUTE_PGM_RSRC2:TIDIG_COMP_CNT: 0
	.section	.text._ZL19rocblas_scal_kernelIiLi256E19rocblas_complex_numIdES1_PKdPKPS1_EviT3_lT4_lT_li,"axG",@progbits,_ZL19rocblas_scal_kernelIiLi256E19rocblas_complex_numIdES1_PKdPKPS1_EviT3_lT4_lT_li,comdat
	.globl	_ZL19rocblas_scal_kernelIiLi256E19rocblas_complex_numIdES1_PKdPKPS1_EviT3_lT4_lT_li ; -- Begin function _ZL19rocblas_scal_kernelIiLi256E19rocblas_complex_numIdES1_PKdPKPS1_EviT3_lT4_lT_li
	.p2align	8
	.type	_ZL19rocblas_scal_kernelIiLi256E19rocblas_complex_numIdES1_PKdPKPS1_EviT3_lT4_lT_li,@function
_ZL19rocblas_scal_kernelIiLi256E19rocblas_complex_numIdES1_PKdPKPS1_EviT3_lT4_lT_li: ; @_ZL19rocblas_scal_kernelIiLi256E19rocblas_complex_numIdES1_PKdPKPS1_EviT3_lT4_lT_li
; %bb.0:
	s_load_b32 s12, s[0:1], 0x38
	s_bfe_u32 s2, ttmp6, 0x40014
	s_lshr_b32 s3, ttmp7, 16
	s_add_co_i32 s2, s2, 1
	s_bfe_u32 s5, ttmp6, 0x40008
	s_mul_i32 s2, s3, s2
	s_getreg_b32 s4, hwreg(HW_REG_IB_STS2, 6, 4)
	s_add_co_i32 s5, s5, s2
	s_cmp_eq_u32 s4, 0
	s_cselect_b32 s2, s3, s5
	s_mov_b32 s3, 0
	s_wait_kmcnt 0x0
	s_cmp_ge_u32 s2, s12
	s_cbranch_scc1 .LBB72_5
; %bb.1:
	s_load_b32 s6, s[0:1], 0x28
	s_bfe_u32 s5, ttmp6, 0x4000c
	s_and_b32 s7, ttmp6, 15
	s_add_co_i32 s5, s5, 1
	v_mov_b32_e32 v1, 0
	s_mul_i32 s5, ttmp9, s5
	s_delay_alu instid0(SALU_CYCLE_1) | instskip(SKIP_4) | instid1(SALU_CYCLE_1)
	s_add_co_i32 s5, s7, s5
	s_wait_kmcnt 0x0
	s_ashr_i32 s7, s6, 31
	s_cmp_eq_u32 s4, 0
	s_cselect_b32 s4, ttmp9, s5
	v_lshl_or_b32 v0, s4, 8, v0
	s_delay_alu instid0(VALU_DEP_1)
	v_mul_u64_e32 v[2:3], s[6:7], v[0:1]
	s_clause 0x1
	s_load_b32 s13, s[0:1], 0x0
	s_load_b256 s[4:11], s[0:1], 0x8
	s_wait_kmcnt 0x0
	v_cmp_gt_u32_e32 vcc_lo, s13, v0
	s_lshl_b64 s[10:11], s[10:11], 4
	s_branch .LBB72_3
.LBB72_2:                               ;   in Loop: Header=BB72_3 Depth=1
	s_wait_xcnt 0x0
	s_or_b32 exec_lo, exec_lo, s0
	s_add_co_i32 s2, s2, 0x10000
	s_delay_alu instid0(SALU_CYCLE_1)
	s_cmp_lt_u32 s2, s12
	s_cbranch_scc0 .LBB72_5
.LBB72_3:                               ; =>This Inner Loop Header: Depth=1
	s_mul_u64 s[0:1], s[6:7], s[2:3]
	s_delay_alu instid0(SALU_CYCLE_1) | instskip(NEXT) | instid1(SALU_CYCLE_1)
	s_lshl_b64 s[0:1], s[0:1], 3
	s_add_nc_u64 s[0:1], s[4:5], s[0:1]
	global_load_b64 v[4:5], v1, s[0:1]
	s_wait_loadcnt 0x0
	s_wait_xcnt 0x0
	v_cmp_neq_f64_e64 s0, 1.0, v[4:5]
	s_and_b32 s1, vcc_lo, s0
	s_delay_alu instid0(SALU_CYCLE_1)
	s_and_saveexec_b32 s0, s1
	s_cbranch_execz .LBB72_2
; %bb.4:                                ;   in Loop: Header=BB72_3 Depth=1
	s_lshl_b64 s[14:15], s[2:3], 3
	s_delay_alu instid0(SALU_CYCLE_1) | instskip(SKIP_4) | instid1(SALU_CYCLE_1)
	s_add_nc_u64 s[14:15], s[8:9], s[14:15]
	s_load_b64 s[14:15], s[14:15], 0x0
	s_wait_kmcnt 0x0
	s_wait_xcnt 0x0
	s_add_nc_u64 s[14:15], s[14:15], s[10:11]
	v_lshl_add_u64 v[12:13], v[2:3], 4, s[14:15]
	flat_load_b128 v[6:9], v[12:13]
	s_wait_loadcnt_dscnt 0x0
	v_mul_f64_e32 v[14:15], 0, v[8:9]
	v_mul_f64_e32 v[10:11], v[4:5], v[8:9]
	s_delay_alu instid0(VALU_DEP_2) | instskip(NEXT) | instid1(VALU_DEP_2)
	v_fma_f64 v[8:9], v[4:5], v[6:7], -v[14:15]
	v_fmac_f64_e32 v[10:11], 0, v[6:7]
	flat_store_b128 v[12:13], v[8:11]
	s_branch .LBB72_2
.LBB72_5:
	s_endpgm
	.section	.rodata,"a",@progbits
	.p2align	6, 0x0
	.amdhsa_kernel _ZL19rocblas_scal_kernelIiLi256E19rocblas_complex_numIdES1_PKdPKPS1_EviT3_lT4_lT_li
		.amdhsa_group_segment_fixed_size 0
		.amdhsa_private_segment_fixed_size 0
		.amdhsa_kernarg_size 60
		.amdhsa_user_sgpr_count 2
		.amdhsa_user_sgpr_dispatch_ptr 0
		.amdhsa_user_sgpr_queue_ptr 0
		.amdhsa_user_sgpr_kernarg_segment_ptr 1
		.amdhsa_user_sgpr_dispatch_id 0
		.amdhsa_user_sgpr_kernarg_preload_length 0
		.amdhsa_user_sgpr_kernarg_preload_offset 0
		.amdhsa_user_sgpr_private_segment_size 0
		.amdhsa_wavefront_size32 1
		.amdhsa_uses_dynamic_stack 0
		.amdhsa_enable_private_segment 0
		.amdhsa_system_sgpr_workgroup_id_x 1
		.amdhsa_system_sgpr_workgroup_id_y 0
		.amdhsa_system_sgpr_workgroup_id_z 1
		.amdhsa_system_sgpr_workgroup_info 0
		.amdhsa_system_vgpr_workitem_id 0
		.amdhsa_next_free_vgpr 16
		.amdhsa_next_free_sgpr 16
		.amdhsa_named_barrier_count 0
		.amdhsa_reserve_vcc 1
		.amdhsa_float_round_mode_32 0
		.amdhsa_float_round_mode_16_64 0
		.amdhsa_float_denorm_mode_32 3
		.amdhsa_float_denorm_mode_16_64 3
		.amdhsa_fp16_overflow 0
		.amdhsa_memory_ordered 1
		.amdhsa_forward_progress 1
		.amdhsa_inst_pref_size 3
		.amdhsa_round_robin_scheduling 0
		.amdhsa_exception_fp_ieee_invalid_op 0
		.amdhsa_exception_fp_denorm_src 0
		.amdhsa_exception_fp_ieee_div_zero 0
		.amdhsa_exception_fp_ieee_overflow 0
		.amdhsa_exception_fp_ieee_underflow 0
		.amdhsa_exception_fp_ieee_inexact 0
		.amdhsa_exception_int_div_zero 0
	.end_amdhsa_kernel
	.section	.text._ZL19rocblas_scal_kernelIiLi256E19rocblas_complex_numIdES1_PKdPKPS1_EviT3_lT4_lT_li,"axG",@progbits,_ZL19rocblas_scal_kernelIiLi256E19rocblas_complex_numIdES1_PKdPKPS1_EviT3_lT4_lT_li,comdat
.Lfunc_end72:
	.size	_ZL19rocblas_scal_kernelIiLi256E19rocblas_complex_numIdES1_PKdPKPS1_EviT3_lT4_lT_li, .Lfunc_end72-_ZL19rocblas_scal_kernelIiLi256E19rocblas_complex_numIdES1_PKdPKPS1_EviT3_lT4_lT_li
                                        ; -- End function
	.set _ZL19rocblas_scal_kernelIiLi256E19rocblas_complex_numIdES1_PKdPKPS1_EviT3_lT4_lT_li.num_vgpr, 16
	.set _ZL19rocblas_scal_kernelIiLi256E19rocblas_complex_numIdES1_PKdPKPS1_EviT3_lT4_lT_li.num_agpr, 0
	.set _ZL19rocblas_scal_kernelIiLi256E19rocblas_complex_numIdES1_PKdPKPS1_EviT3_lT4_lT_li.numbered_sgpr, 16
	.set _ZL19rocblas_scal_kernelIiLi256E19rocblas_complex_numIdES1_PKdPKPS1_EviT3_lT4_lT_li.num_named_barrier, 0
	.set _ZL19rocblas_scal_kernelIiLi256E19rocblas_complex_numIdES1_PKdPKPS1_EviT3_lT4_lT_li.private_seg_size, 0
	.set _ZL19rocblas_scal_kernelIiLi256E19rocblas_complex_numIdES1_PKdPKPS1_EviT3_lT4_lT_li.uses_vcc, 1
	.set _ZL19rocblas_scal_kernelIiLi256E19rocblas_complex_numIdES1_PKdPKPS1_EviT3_lT4_lT_li.uses_flat_scratch, 0
	.set _ZL19rocblas_scal_kernelIiLi256E19rocblas_complex_numIdES1_PKdPKPS1_EviT3_lT4_lT_li.has_dyn_sized_stack, 0
	.set _ZL19rocblas_scal_kernelIiLi256E19rocblas_complex_numIdES1_PKdPKPS1_EviT3_lT4_lT_li.has_recursion, 0
	.set _ZL19rocblas_scal_kernelIiLi256E19rocblas_complex_numIdES1_PKdPKPS1_EviT3_lT4_lT_li.has_indirect_call, 0
	.section	.AMDGPU.csdata,"",@progbits
; Kernel info:
; codeLenInByte = 364
; TotalNumSgprs: 18
; NumVgprs: 16
; ScratchSize: 0
; MemoryBound: 0
; FloatMode: 240
; IeeeMode: 1
; LDSByteSize: 0 bytes/workgroup (compile time only)
; SGPRBlocks: 0
; VGPRBlocks: 0
; NumSGPRsForWavesPerEU: 18
; NumVGPRsForWavesPerEU: 16
; NamedBarCnt: 0
; Occupancy: 16
; WaveLimiterHint : 1
; COMPUTE_PGM_RSRC2:SCRATCH_EN: 0
; COMPUTE_PGM_RSRC2:USER_SGPR: 2
; COMPUTE_PGM_RSRC2:TRAP_HANDLER: 0
; COMPUTE_PGM_RSRC2:TGID_X_EN: 1
; COMPUTE_PGM_RSRC2:TGID_Y_EN: 0
; COMPUTE_PGM_RSRC2:TGID_Z_EN: 1
; COMPUTE_PGM_RSRC2:TIDIG_COMP_CNT: 0
	.section	.text._ZL19rocblas_scal_kernelIiLi256E19rocblas_complex_numIdES1_dPKPS1_EviT3_lT4_lT_li,"axG",@progbits,_ZL19rocblas_scal_kernelIiLi256E19rocblas_complex_numIdES1_dPKPS1_EviT3_lT4_lT_li,comdat
	.globl	_ZL19rocblas_scal_kernelIiLi256E19rocblas_complex_numIdES1_dPKPS1_EviT3_lT4_lT_li ; -- Begin function _ZL19rocblas_scal_kernelIiLi256E19rocblas_complex_numIdES1_dPKPS1_EviT3_lT4_lT_li
	.p2align	8
	.type	_ZL19rocblas_scal_kernelIiLi256E19rocblas_complex_numIdES1_dPKPS1_EviT3_lT4_lT_li,@function
_ZL19rocblas_scal_kernelIiLi256E19rocblas_complex_numIdES1_dPKPS1_EviT3_lT4_lT_li: ; @_ZL19rocblas_scal_kernelIiLi256E19rocblas_complex_numIdES1_dPKPS1_EviT3_lT4_lT_li
; %bb.0:
	s_load_b32 s8, s[0:1], 0x38
	s_bfe_u32 s2, ttmp6, 0x40014
	s_lshr_b32 s3, ttmp7, 16
	s_add_co_i32 s2, s2, 1
	s_bfe_u32 s5, ttmp6, 0x40008
	s_mul_i32 s2, s3, s2
	s_getreg_b32 s4, hwreg(HW_REG_IB_STS2, 6, 4)
	s_add_co_i32 s5, s5, s2
	s_cmp_eq_u32 s4, 0
	s_cselect_b32 s9, s3, s5
	s_wait_kmcnt 0x0
	s_cmp_ge_u32 s9, s8
	s_cbranch_scc1 .LBB73_5
; %bb.1:
	s_clause 0x1
	s_load_b32 s6, s[0:1], 0x28
	s_load_b64 s[2:3], s[0:1], 0x8
	s_bfe_u32 s5, ttmp6, 0x4000c
	s_and_b32 s7, ttmp6, 15
	s_add_co_i32 s5, s5, 1
	v_mov_b32_e32 v3, 0
	s_mul_i32 s5, ttmp9, s5
	s_delay_alu instid0(SALU_CYCLE_1)
	s_add_co_i32 s5, s7, s5
	s_wait_kmcnt 0x0
	s_ashr_i32 s7, s6, 31
	s_cmp_eq_u32 s4, 0
	v_cmp_neq_f64_e64 s10, s[2:3], 1.0
	s_cselect_b32 s4, ttmp9, s5
	s_delay_alu instid0(SALU_CYCLE_1) | instskip(NEXT) | instid1(VALU_DEP_1)
	v_lshl_or_b32 v2, s4, 8, v0
	v_mul_u64_e32 v[0:1], s[6:7], v[2:3]
	s_clause 0x1
	s_load_b32 s11, s[0:1], 0x0
	s_load_b128 s[4:7], s[0:1], 0x18
	s_wait_kmcnt 0x0
	v_cmp_gt_u32_e32 vcc_lo, s11, v2
	s_lshl_b64 s[0:1], s[6:7], 4
	s_and_b32 s10, vcc_lo, s10
	s_branch .LBB73_3
.LBB73_2:                               ;   in Loop: Header=BB73_3 Depth=1
	s_wait_xcnt 0x0
	s_or_b32 exec_lo, exec_lo, s6
	s_add_co_i32 s9, s9, 0x10000
	s_delay_alu instid0(SALU_CYCLE_1)
	s_cmp_lt_u32 s9, s8
	s_cbranch_scc0 .LBB73_5
.LBB73_3:                               ; =>This Inner Loop Header: Depth=1
	s_and_saveexec_b32 s6, s10
	s_cbranch_execz .LBB73_2
; %bb.4:                                ;   in Loop: Header=BB73_3 Depth=1
	s_load_b64 s[12:13], s[4:5], s9 offset:0x0 scale_offset
	s_wait_kmcnt 0x0
	s_add_nc_u64 s[12:13], s[12:13], s[0:1]
	s_delay_alu instid0(VALU_DEP_2) | instid1(SALU_CYCLE_1)
	v_lshl_add_u64 v[8:9], v[0:1], 4, s[12:13]
	flat_load_b128 v[2:5], v[8:9]
	s_wait_loadcnt_dscnt 0x0
	v_mul_f64_e32 v[10:11], 0, v[4:5]
	v_mul_f64_e32 v[6:7], s[2:3], v[4:5]
	s_delay_alu instid0(VALU_DEP_2) | instskip(NEXT) | instid1(VALU_DEP_2)
	v_fma_f64 v[4:5], s[2:3], v[2:3], -v[10:11]
	v_fmac_f64_e32 v[6:7], 0, v[2:3]
	flat_store_b128 v[8:9], v[4:7]
	s_branch .LBB73_2
.LBB73_5:
	s_endpgm
	.section	.rodata,"a",@progbits
	.p2align	6, 0x0
	.amdhsa_kernel _ZL19rocblas_scal_kernelIiLi256E19rocblas_complex_numIdES1_dPKPS1_EviT3_lT4_lT_li
		.amdhsa_group_segment_fixed_size 0
		.amdhsa_private_segment_fixed_size 0
		.amdhsa_kernarg_size 60
		.amdhsa_user_sgpr_count 2
		.amdhsa_user_sgpr_dispatch_ptr 0
		.amdhsa_user_sgpr_queue_ptr 0
		.amdhsa_user_sgpr_kernarg_segment_ptr 1
		.amdhsa_user_sgpr_dispatch_id 0
		.amdhsa_user_sgpr_kernarg_preload_length 0
		.amdhsa_user_sgpr_kernarg_preload_offset 0
		.amdhsa_user_sgpr_private_segment_size 0
		.amdhsa_wavefront_size32 1
		.amdhsa_uses_dynamic_stack 0
		.amdhsa_enable_private_segment 0
		.amdhsa_system_sgpr_workgroup_id_x 1
		.amdhsa_system_sgpr_workgroup_id_y 0
		.amdhsa_system_sgpr_workgroup_id_z 1
		.amdhsa_system_sgpr_workgroup_info 0
		.amdhsa_system_vgpr_workitem_id 0
		.amdhsa_next_free_vgpr 12
		.amdhsa_next_free_sgpr 14
		.amdhsa_named_barrier_count 0
		.amdhsa_reserve_vcc 1
		.amdhsa_float_round_mode_32 0
		.amdhsa_float_round_mode_16_64 0
		.amdhsa_float_denorm_mode_32 3
		.amdhsa_float_denorm_mode_16_64 3
		.amdhsa_fp16_overflow 0
		.amdhsa_memory_ordered 1
		.amdhsa_forward_progress 1
		.amdhsa_inst_pref_size 3
		.amdhsa_round_robin_scheduling 0
		.amdhsa_exception_fp_ieee_invalid_op 0
		.amdhsa_exception_fp_denorm_src 0
		.amdhsa_exception_fp_ieee_div_zero 0
		.amdhsa_exception_fp_ieee_overflow 0
		.amdhsa_exception_fp_ieee_underflow 0
		.amdhsa_exception_fp_ieee_inexact 0
		.amdhsa_exception_int_div_zero 0
	.end_amdhsa_kernel
	.section	.text._ZL19rocblas_scal_kernelIiLi256E19rocblas_complex_numIdES1_dPKPS1_EviT3_lT4_lT_li,"axG",@progbits,_ZL19rocblas_scal_kernelIiLi256E19rocblas_complex_numIdES1_dPKPS1_EviT3_lT4_lT_li,comdat
.Lfunc_end73:
	.size	_ZL19rocblas_scal_kernelIiLi256E19rocblas_complex_numIdES1_dPKPS1_EviT3_lT4_lT_li, .Lfunc_end73-_ZL19rocblas_scal_kernelIiLi256E19rocblas_complex_numIdES1_dPKPS1_EviT3_lT4_lT_li
                                        ; -- End function
	.set _ZL19rocblas_scal_kernelIiLi256E19rocblas_complex_numIdES1_dPKPS1_EviT3_lT4_lT_li.num_vgpr, 12
	.set _ZL19rocblas_scal_kernelIiLi256E19rocblas_complex_numIdES1_dPKPS1_EviT3_lT4_lT_li.num_agpr, 0
	.set _ZL19rocblas_scal_kernelIiLi256E19rocblas_complex_numIdES1_dPKPS1_EviT3_lT4_lT_li.numbered_sgpr, 14
	.set _ZL19rocblas_scal_kernelIiLi256E19rocblas_complex_numIdES1_dPKPS1_EviT3_lT4_lT_li.num_named_barrier, 0
	.set _ZL19rocblas_scal_kernelIiLi256E19rocblas_complex_numIdES1_dPKPS1_EviT3_lT4_lT_li.private_seg_size, 0
	.set _ZL19rocblas_scal_kernelIiLi256E19rocblas_complex_numIdES1_dPKPS1_EviT3_lT4_lT_li.uses_vcc, 1
	.set _ZL19rocblas_scal_kernelIiLi256E19rocblas_complex_numIdES1_dPKPS1_EviT3_lT4_lT_li.uses_flat_scratch, 0
	.set _ZL19rocblas_scal_kernelIiLi256E19rocblas_complex_numIdES1_dPKPS1_EviT3_lT4_lT_li.has_dyn_sized_stack, 0
	.set _ZL19rocblas_scal_kernelIiLi256E19rocblas_complex_numIdES1_dPKPS1_EviT3_lT4_lT_li.has_recursion, 0
	.set _ZL19rocblas_scal_kernelIiLi256E19rocblas_complex_numIdES1_dPKPS1_EviT3_lT4_lT_li.has_indirect_call, 0
	.section	.AMDGPU.csdata,"",@progbits
; Kernel info:
; codeLenInByte = 320
; TotalNumSgprs: 16
; NumVgprs: 12
; ScratchSize: 0
; MemoryBound: 0
; FloatMode: 240
; IeeeMode: 1
; LDSByteSize: 0 bytes/workgroup (compile time only)
; SGPRBlocks: 0
; VGPRBlocks: 0
; NumSGPRsForWavesPerEU: 16
; NumVGPRsForWavesPerEU: 12
; NamedBarCnt: 0
; Occupancy: 16
; WaveLimiterHint : 1
; COMPUTE_PGM_RSRC2:SCRATCH_EN: 0
; COMPUTE_PGM_RSRC2:USER_SGPR: 2
; COMPUTE_PGM_RSRC2:TRAP_HANDLER: 0
; COMPUTE_PGM_RSRC2:TGID_X_EN: 1
; COMPUTE_PGM_RSRC2:TGID_Y_EN: 0
; COMPUTE_PGM_RSRC2:TGID_Z_EN: 1
; COMPUTE_PGM_RSRC2:TIDIG_COMP_CNT: 0
	.section	.text._ZL19rocblas_scal_kernelIlLi256E19rocblas_complex_numIdES1_PKdPKPS1_EviT3_lT4_lT_li,"axG",@progbits,_ZL19rocblas_scal_kernelIlLi256E19rocblas_complex_numIdES1_PKdPKPS1_EviT3_lT4_lT_li,comdat
	.globl	_ZL19rocblas_scal_kernelIlLi256E19rocblas_complex_numIdES1_PKdPKPS1_EviT3_lT4_lT_li ; -- Begin function _ZL19rocblas_scal_kernelIlLi256E19rocblas_complex_numIdES1_PKdPKPS1_EviT3_lT4_lT_li
	.p2align	8
	.type	_ZL19rocblas_scal_kernelIlLi256E19rocblas_complex_numIdES1_PKdPKPS1_EviT3_lT4_lT_li,@function
_ZL19rocblas_scal_kernelIlLi256E19rocblas_complex_numIdES1_PKdPKPS1_EviT3_lT4_lT_li: ; @_ZL19rocblas_scal_kernelIlLi256E19rocblas_complex_numIdES1_PKdPKPS1_EviT3_lT4_lT_li
; %bb.0:
	s_load_b32 s12, s[0:1], 0x38
	s_bfe_u32 s2, ttmp6, 0x40014
	s_lshr_b32 s3, ttmp7, 16
	s_add_co_i32 s2, s2, 1
	s_bfe_u32 s5, ttmp6, 0x40008
	s_mul_i32 s2, s3, s2
	s_getreg_b32 s4, hwreg(HW_REG_IB_STS2, 6, 4)
	s_add_co_i32 s5, s5, s2
	s_cmp_eq_u32 s4, 0
	s_cselect_b32 s2, s3, s5
	s_mov_b32 s3, 0
	s_wait_kmcnt 0x0
	s_cmp_ge_u32 s2, s12
	s_cbranch_scc1 .LBB74_5
; %bb.1:
	s_load_b64 s[6:7], s[0:1], 0x28
	s_bfe_u32 s5, ttmp6, 0x4000c
	s_and_b32 s8, ttmp6, 15
	s_add_co_i32 s5, s5, 1
	v_mov_b32_e32 v1, 0
	s_mul_i32 s5, ttmp9, s5
	s_delay_alu instid0(SALU_CYCLE_1) | instskip(SKIP_2) | instid1(SALU_CYCLE_1)
	s_add_co_i32 s8, s8, s5
	s_cmp_eq_u32 s4, 0
	s_cselect_b32 s4, ttmp9, s8
	v_lshl_or_b32 v0, s4, 8, v0
	s_wait_kmcnt 0x0
	s_delay_alu instid0(VALU_DEP_1)
	v_mul_u64_e32 v[2:3], s[6:7], v[0:1]
	s_clause 0x1
	s_load_b32 s13, s[0:1], 0x0
	s_load_b256 s[4:11], s[0:1], 0x8
	s_wait_kmcnt 0x0
	v_cmp_gt_u32_e32 vcc_lo, s13, v0
	s_lshl_b64 s[10:11], s[10:11], 4
	s_branch .LBB74_3
.LBB74_2:                               ;   in Loop: Header=BB74_3 Depth=1
	s_wait_xcnt 0x0
	s_or_b32 exec_lo, exec_lo, s0
	s_add_co_i32 s2, s2, 0x10000
	s_delay_alu instid0(SALU_CYCLE_1)
	s_cmp_lt_u32 s2, s12
	s_cbranch_scc0 .LBB74_5
.LBB74_3:                               ; =>This Inner Loop Header: Depth=1
	s_mul_u64 s[0:1], s[6:7], s[2:3]
	s_delay_alu instid0(SALU_CYCLE_1) | instskip(NEXT) | instid1(SALU_CYCLE_1)
	s_lshl_b64 s[0:1], s[0:1], 3
	s_add_nc_u64 s[0:1], s[4:5], s[0:1]
	global_load_b64 v[4:5], v1, s[0:1]
	s_wait_loadcnt 0x0
	s_wait_xcnt 0x0
	v_cmp_neq_f64_e64 s0, 1.0, v[4:5]
	s_and_b32 s1, vcc_lo, s0
	s_delay_alu instid0(SALU_CYCLE_1)
	s_and_saveexec_b32 s0, s1
	s_cbranch_execz .LBB74_2
; %bb.4:                                ;   in Loop: Header=BB74_3 Depth=1
	s_lshl_b64 s[14:15], s[2:3], 3
	s_delay_alu instid0(SALU_CYCLE_1) | instskip(SKIP_4) | instid1(SALU_CYCLE_1)
	s_add_nc_u64 s[14:15], s[8:9], s[14:15]
	s_load_b64 s[14:15], s[14:15], 0x0
	s_wait_kmcnt 0x0
	s_wait_xcnt 0x0
	s_add_nc_u64 s[14:15], s[14:15], s[10:11]
	v_lshl_add_u64 v[12:13], v[2:3], 4, s[14:15]
	flat_load_b128 v[6:9], v[12:13]
	s_wait_loadcnt_dscnt 0x0
	v_mul_f64_e32 v[14:15], 0, v[8:9]
	v_mul_f64_e32 v[10:11], v[4:5], v[8:9]
	s_delay_alu instid0(VALU_DEP_2) | instskip(NEXT) | instid1(VALU_DEP_2)
	v_fma_f64 v[8:9], v[4:5], v[6:7], -v[14:15]
	v_fmac_f64_e32 v[10:11], 0, v[6:7]
	flat_store_b128 v[12:13], v[8:11]
	s_branch .LBB74_2
.LBB74_5:
	s_endpgm
	.section	.rodata,"a",@progbits
	.p2align	6, 0x0
	.amdhsa_kernel _ZL19rocblas_scal_kernelIlLi256E19rocblas_complex_numIdES1_PKdPKPS1_EviT3_lT4_lT_li
		.amdhsa_group_segment_fixed_size 0
		.amdhsa_private_segment_fixed_size 0
		.amdhsa_kernarg_size 60
		.amdhsa_user_sgpr_count 2
		.amdhsa_user_sgpr_dispatch_ptr 0
		.amdhsa_user_sgpr_queue_ptr 0
		.amdhsa_user_sgpr_kernarg_segment_ptr 1
		.amdhsa_user_sgpr_dispatch_id 0
		.amdhsa_user_sgpr_kernarg_preload_length 0
		.amdhsa_user_sgpr_kernarg_preload_offset 0
		.amdhsa_user_sgpr_private_segment_size 0
		.amdhsa_wavefront_size32 1
		.amdhsa_uses_dynamic_stack 0
		.amdhsa_enable_private_segment 0
		.amdhsa_system_sgpr_workgroup_id_x 1
		.amdhsa_system_sgpr_workgroup_id_y 0
		.amdhsa_system_sgpr_workgroup_id_z 1
		.amdhsa_system_sgpr_workgroup_info 0
		.amdhsa_system_vgpr_workitem_id 0
		.amdhsa_next_free_vgpr 16
		.amdhsa_next_free_sgpr 16
		.amdhsa_named_barrier_count 0
		.amdhsa_reserve_vcc 1
		.amdhsa_float_round_mode_32 0
		.amdhsa_float_round_mode_16_64 0
		.amdhsa_float_denorm_mode_32 3
		.amdhsa_float_denorm_mode_16_64 3
		.amdhsa_fp16_overflow 0
		.amdhsa_memory_ordered 1
		.amdhsa_forward_progress 1
		.amdhsa_inst_pref_size 3
		.amdhsa_round_robin_scheduling 0
		.amdhsa_exception_fp_ieee_invalid_op 0
		.amdhsa_exception_fp_denorm_src 0
		.amdhsa_exception_fp_ieee_div_zero 0
		.amdhsa_exception_fp_ieee_overflow 0
		.amdhsa_exception_fp_ieee_underflow 0
		.amdhsa_exception_fp_ieee_inexact 0
		.amdhsa_exception_int_div_zero 0
	.end_amdhsa_kernel
	.section	.text._ZL19rocblas_scal_kernelIlLi256E19rocblas_complex_numIdES1_PKdPKPS1_EviT3_lT4_lT_li,"axG",@progbits,_ZL19rocblas_scal_kernelIlLi256E19rocblas_complex_numIdES1_PKdPKPS1_EviT3_lT4_lT_li,comdat
.Lfunc_end74:
	.size	_ZL19rocblas_scal_kernelIlLi256E19rocblas_complex_numIdES1_PKdPKPS1_EviT3_lT4_lT_li, .Lfunc_end74-_ZL19rocblas_scal_kernelIlLi256E19rocblas_complex_numIdES1_PKdPKPS1_EviT3_lT4_lT_li
                                        ; -- End function
	.set _ZL19rocblas_scal_kernelIlLi256E19rocblas_complex_numIdES1_PKdPKPS1_EviT3_lT4_lT_li.num_vgpr, 16
	.set _ZL19rocblas_scal_kernelIlLi256E19rocblas_complex_numIdES1_PKdPKPS1_EviT3_lT4_lT_li.num_agpr, 0
	.set _ZL19rocblas_scal_kernelIlLi256E19rocblas_complex_numIdES1_PKdPKPS1_EviT3_lT4_lT_li.numbered_sgpr, 16
	.set _ZL19rocblas_scal_kernelIlLi256E19rocblas_complex_numIdES1_PKdPKPS1_EviT3_lT4_lT_li.num_named_barrier, 0
	.set _ZL19rocblas_scal_kernelIlLi256E19rocblas_complex_numIdES1_PKdPKPS1_EviT3_lT4_lT_li.private_seg_size, 0
	.set _ZL19rocblas_scal_kernelIlLi256E19rocblas_complex_numIdES1_PKdPKPS1_EviT3_lT4_lT_li.uses_vcc, 1
	.set _ZL19rocblas_scal_kernelIlLi256E19rocblas_complex_numIdES1_PKdPKPS1_EviT3_lT4_lT_li.uses_flat_scratch, 0
	.set _ZL19rocblas_scal_kernelIlLi256E19rocblas_complex_numIdES1_PKdPKPS1_EviT3_lT4_lT_li.has_dyn_sized_stack, 0
	.set _ZL19rocblas_scal_kernelIlLi256E19rocblas_complex_numIdES1_PKdPKPS1_EviT3_lT4_lT_li.has_recursion, 0
	.set _ZL19rocblas_scal_kernelIlLi256E19rocblas_complex_numIdES1_PKdPKPS1_EviT3_lT4_lT_li.has_indirect_call, 0
	.section	.AMDGPU.csdata,"",@progbits
; Kernel info:
; codeLenInByte = 360
; TotalNumSgprs: 18
; NumVgprs: 16
; ScratchSize: 0
; MemoryBound: 0
; FloatMode: 240
; IeeeMode: 1
; LDSByteSize: 0 bytes/workgroup (compile time only)
; SGPRBlocks: 0
; VGPRBlocks: 0
; NumSGPRsForWavesPerEU: 18
; NumVGPRsForWavesPerEU: 16
; NamedBarCnt: 0
; Occupancy: 16
; WaveLimiterHint : 1
; COMPUTE_PGM_RSRC2:SCRATCH_EN: 0
; COMPUTE_PGM_RSRC2:USER_SGPR: 2
; COMPUTE_PGM_RSRC2:TRAP_HANDLER: 0
; COMPUTE_PGM_RSRC2:TGID_X_EN: 1
; COMPUTE_PGM_RSRC2:TGID_Y_EN: 0
; COMPUTE_PGM_RSRC2:TGID_Z_EN: 1
; COMPUTE_PGM_RSRC2:TIDIG_COMP_CNT: 0
	.section	.text._ZL19rocblas_scal_kernelIlLi256E19rocblas_complex_numIdES1_dPKPS1_EviT3_lT4_lT_li,"axG",@progbits,_ZL19rocblas_scal_kernelIlLi256E19rocblas_complex_numIdES1_dPKPS1_EviT3_lT4_lT_li,comdat
	.globl	_ZL19rocblas_scal_kernelIlLi256E19rocblas_complex_numIdES1_dPKPS1_EviT3_lT4_lT_li ; -- Begin function _ZL19rocblas_scal_kernelIlLi256E19rocblas_complex_numIdES1_dPKPS1_EviT3_lT4_lT_li
	.p2align	8
	.type	_ZL19rocblas_scal_kernelIlLi256E19rocblas_complex_numIdES1_dPKPS1_EviT3_lT4_lT_li,@function
_ZL19rocblas_scal_kernelIlLi256E19rocblas_complex_numIdES1_dPKPS1_EviT3_lT4_lT_li: ; @_ZL19rocblas_scal_kernelIlLi256E19rocblas_complex_numIdES1_dPKPS1_EviT3_lT4_lT_li
; %bb.0:
	s_load_b32 s8, s[0:1], 0x38
	s_bfe_u32 s2, ttmp6, 0x40014
	s_lshr_b32 s3, ttmp7, 16
	s_add_co_i32 s2, s2, 1
	s_bfe_u32 s5, ttmp6, 0x40008
	s_mul_i32 s2, s3, s2
	s_getreg_b32 s4, hwreg(HW_REG_IB_STS2, 6, 4)
	s_add_co_i32 s5, s5, s2
	s_cmp_eq_u32 s4, 0
	s_cselect_b32 s9, s3, s5
	s_wait_kmcnt 0x0
	s_cmp_ge_u32 s9, s8
	s_cbranch_scc1 .LBB75_5
; %bb.1:
	s_clause 0x1
	s_load_b64 s[2:3], s[0:1], 0x8
	s_load_b64 s[6:7], s[0:1], 0x28
	s_bfe_u32 s5, ttmp6, 0x4000c
	s_and_b32 s10, ttmp6, 15
	s_add_co_i32 s5, s5, 1
	v_mov_b32_e32 v3, 0
	s_mul_i32 s5, ttmp9, s5
	s_delay_alu instid0(SALU_CYCLE_1) | instskip(SKIP_2) | instid1(SALU_CYCLE_1)
	s_add_co_i32 s10, s10, s5
	s_cmp_eq_u32 s4, 0
	s_cselect_b32 s4, ttmp9, s10
	v_lshl_or_b32 v2, s4, 8, v0
	s_wait_kmcnt 0x0
	v_cmp_neq_f64_e64 s10, s[2:3], 1.0
	s_delay_alu instid0(VALU_DEP_2)
	v_mul_u64_e32 v[0:1], s[6:7], v[2:3]
	s_clause 0x1
	s_load_b32 s11, s[0:1], 0x0
	s_load_b128 s[4:7], s[0:1], 0x18
	s_wait_kmcnt 0x0
	v_cmp_gt_u32_e32 vcc_lo, s11, v2
	s_lshl_b64 s[0:1], s[6:7], 4
	s_and_b32 s10, vcc_lo, s10
	s_branch .LBB75_3
.LBB75_2:                               ;   in Loop: Header=BB75_3 Depth=1
	s_wait_xcnt 0x0
	s_or_b32 exec_lo, exec_lo, s6
	s_add_co_i32 s9, s9, 0x10000
	s_delay_alu instid0(SALU_CYCLE_1)
	s_cmp_lt_u32 s9, s8
	s_cbranch_scc0 .LBB75_5
.LBB75_3:                               ; =>This Inner Loop Header: Depth=1
	s_and_saveexec_b32 s6, s10
	s_cbranch_execz .LBB75_2
; %bb.4:                                ;   in Loop: Header=BB75_3 Depth=1
	s_load_b64 s[12:13], s[4:5], s9 offset:0x0 scale_offset
	s_wait_kmcnt 0x0
	s_add_nc_u64 s[12:13], s[12:13], s[0:1]
	s_delay_alu instid0(VALU_DEP_2) | instid1(SALU_CYCLE_1)
	v_lshl_add_u64 v[8:9], v[0:1], 4, s[12:13]
	flat_load_b128 v[2:5], v[8:9]
	s_wait_loadcnt_dscnt 0x0
	v_mul_f64_e32 v[10:11], 0, v[4:5]
	v_mul_f64_e32 v[6:7], s[2:3], v[4:5]
	s_delay_alu instid0(VALU_DEP_2) | instskip(NEXT) | instid1(VALU_DEP_2)
	v_fma_f64 v[4:5], s[2:3], v[2:3], -v[10:11]
	v_fmac_f64_e32 v[6:7], 0, v[2:3]
	flat_store_b128 v[8:9], v[4:7]
	s_branch .LBB75_2
.LBB75_5:
	s_endpgm
	.section	.rodata,"a",@progbits
	.p2align	6, 0x0
	.amdhsa_kernel _ZL19rocblas_scal_kernelIlLi256E19rocblas_complex_numIdES1_dPKPS1_EviT3_lT4_lT_li
		.amdhsa_group_segment_fixed_size 0
		.amdhsa_private_segment_fixed_size 0
		.amdhsa_kernarg_size 60
		.amdhsa_user_sgpr_count 2
		.amdhsa_user_sgpr_dispatch_ptr 0
		.amdhsa_user_sgpr_queue_ptr 0
		.amdhsa_user_sgpr_kernarg_segment_ptr 1
		.amdhsa_user_sgpr_dispatch_id 0
		.amdhsa_user_sgpr_kernarg_preload_length 0
		.amdhsa_user_sgpr_kernarg_preload_offset 0
		.amdhsa_user_sgpr_private_segment_size 0
		.amdhsa_wavefront_size32 1
		.amdhsa_uses_dynamic_stack 0
		.amdhsa_enable_private_segment 0
		.amdhsa_system_sgpr_workgroup_id_x 1
		.amdhsa_system_sgpr_workgroup_id_y 0
		.amdhsa_system_sgpr_workgroup_id_z 1
		.amdhsa_system_sgpr_workgroup_info 0
		.amdhsa_system_vgpr_workitem_id 0
		.amdhsa_next_free_vgpr 12
		.amdhsa_next_free_sgpr 14
		.amdhsa_named_barrier_count 0
		.amdhsa_reserve_vcc 1
		.amdhsa_float_round_mode_32 0
		.amdhsa_float_round_mode_16_64 0
		.amdhsa_float_denorm_mode_32 3
		.amdhsa_float_denorm_mode_16_64 3
		.amdhsa_fp16_overflow 0
		.amdhsa_memory_ordered 1
		.amdhsa_forward_progress 1
		.amdhsa_inst_pref_size 3
		.amdhsa_round_robin_scheduling 0
		.amdhsa_exception_fp_ieee_invalid_op 0
		.amdhsa_exception_fp_denorm_src 0
		.amdhsa_exception_fp_ieee_div_zero 0
		.amdhsa_exception_fp_ieee_overflow 0
		.amdhsa_exception_fp_ieee_underflow 0
		.amdhsa_exception_fp_ieee_inexact 0
		.amdhsa_exception_int_div_zero 0
	.end_amdhsa_kernel
	.section	.text._ZL19rocblas_scal_kernelIlLi256E19rocblas_complex_numIdES1_dPKPS1_EviT3_lT4_lT_li,"axG",@progbits,_ZL19rocblas_scal_kernelIlLi256E19rocblas_complex_numIdES1_dPKPS1_EviT3_lT4_lT_li,comdat
.Lfunc_end75:
	.size	_ZL19rocblas_scal_kernelIlLi256E19rocblas_complex_numIdES1_dPKPS1_EviT3_lT4_lT_li, .Lfunc_end75-_ZL19rocblas_scal_kernelIlLi256E19rocblas_complex_numIdES1_dPKPS1_EviT3_lT4_lT_li
                                        ; -- End function
	.set _ZL19rocblas_scal_kernelIlLi256E19rocblas_complex_numIdES1_dPKPS1_EviT3_lT4_lT_li.num_vgpr, 12
	.set _ZL19rocblas_scal_kernelIlLi256E19rocblas_complex_numIdES1_dPKPS1_EviT3_lT4_lT_li.num_agpr, 0
	.set _ZL19rocblas_scal_kernelIlLi256E19rocblas_complex_numIdES1_dPKPS1_EviT3_lT4_lT_li.numbered_sgpr, 14
	.set _ZL19rocblas_scal_kernelIlLi256E19rocblas_complex_numIdES1_dPKPS1_EviT3_lT4_lT_li.num_named_barrier, 0
	.set _ZL19rocblas_scal_kernelIlLi256E19rocblas_complex_numIdES1_dPKPS1_EviT3_lT4_lT_li.private_seg_size, 0
	.set _ZL19rocblas_scal_kernelIlLi256E19rocblas_complex_numIdES1_dPKPS1_EviT3_lT4_lT_li.uses_vcc, 1
	.set _ZL19rocblas_scal_kernelIlLi256E19rocblas_complex_numIdES1_dPKPS1_EviT3_lT4_lT_li.uses_flat_scratch, 0
	.set _ZL19rocblas_scal_kernelIlLi256E19rocblas_complex_numIdES1_dPKPS1_EviT3_lT4_lT_li.has_dyn_sized_stack, 0
	.set _ZL19rocblas_scal_kernelIlLi256E19rocblas_complex_numIdES1_dPKPS1_EviT3_lT4_lT_li.has_recursion, 0
	.set _ZL19rocblas_scal_kernelIlLi256E19rocblas_complex_numIdES1_dPKPS1_EviT3_lT4_lT_li.has_indirect_call, 0
	.section	.AMDGPU.csdata,"",@progbits
; Kernel info:
; codeLenInByte = 316
; TotalNumSgprs: 16
; NumVgprs: 12
; ScratchSize: 0
; MemoryBound: 0
; FloatMode: 240
; IeeeMode: 1
; LDSByteSize: 0 bytes/workgroup (compile time only)
; SGPRBlocks: 0
; VGPRBlocks: 0
; NumSGPRsForWavesPerEU: 16
; NumVGPRsForWavesPerEU: 12
; NamedBarCnt: 0
; Occupancy: 16
; WaveLimiterHint : 1
; COMPUTE_PGM_RSRC2:SCRATCH_EN: 0
; COMPUTE_PGM_RSRC2:USER_SGPR: 2
; COMPUTE_PGM_RSRC2:TRAP_HANDLER: 0
; COMPUTE_PGM_RSRC2:TGID_X_EN: 1
; COMPUTE_PGM_RSRC2:TGID_Y_EN: 0
; COMPUTE_PGM_RSRC2:TGID_Z_EN: 1
; COMPUTE_PGM_RSRC2:TIDIG_COMP_CNT: 0
	.section	.text._ZL22rocblas_sscal_2_kernelILi256EDF16_fPKDF16_PDF16_EviT2_lT3_lli,"axG",@progbits,_ZL22rocblas_sscal_2_kernelILi256EDF16_fPKDF16_PDF16_EviT2_lT3_lli,comdat
	.globl	_ZL22rocblas_sscal_2_kernelILi256EDF16_fPKDF16_PDF16_EviT2_lT3_lli ; -- Begin function _ZL22rocblas_sscal_2_kernelILi256EDF16_fPKDF16_PDF16_EviT2_lT3_lli
	.p2align	8
	.type	_ZL22rocblas_sscal_2_kernelILi256EDF16_fPKDF16_PDF16_EviT2_lT3_lli,@function
_ZL22rocblas_sscal_2_kernelILi256EDF16_fPKDF16_PDF16_EviT2_lT3_lli: ; @_ZL22rocblas_sscal_2_kernelILi256EDF16_fPKDF16_PDF16_EviT2_lT3_lli
; %bb.0:
	s_load_b32 s12, s[0:1], 0x30
	s_bfe_u32 s2, ttmp6, 0x40014
	s_lshr_b32 s3, ttmp7, 16
	s_add_co_i32 s2, s2, 1
	s_bfe_u32 s4, ttmp6, 0x40008
	s_mul_i32 s2, s3, s2
	s_getreg_b32 s13, hwreg(HW_REG_IB_STS2, 6, 4)
	s_add_co_i32 s4, s4, s2
	s_cmp_eq_u32 s13, 0
	s_cselect_b32 s2, s3, s4
	s_mov_b32 s3, 0
	s_wait_kmcnt 0x0
	s_cmp_ge_u32 s2, s12
	s_cbranch_scc1 .LBB76_9
; %bb.1:
	s_clause 0x2
	s_load_b128 s[4:7], s[0:1], 0x20
	s_load_b32 s16, s[0:1], 0x0
	s_load_b64 s[14:15], s[0:1], 0x18
	s_bfe_u32 s17, ttmp6, 0x4000c
	s_load_b128 s[8:11], s[0:1], 0x8
	s_add_co_i32 s17, s17, 1
	s_wait_xcnt 0x0
	s_and_b32 s0, ttmp6, 15
	s_mul_i32 s1, ttmp9, s17
	v_lshlrev_b32_e32 v0, 1, v0
	s_add_co_i32 s0, s0, s1
	s_wait_kmcnt 0x0
	s_lshl_b64 s[4:5], s[4:5], 1
	s_cmp_eq_u32 s13, 0
	s_add_nc_u64 s[4:5], s[14:15], s[4:5]
	s_cselect_b32 s0, ttmp9, s0
	s_bitcmp1_b32 s16, 0
	v_lshl_or_b32 v0, s0, 9, v0
	s_cselect_b32 s1, -1, 0
	s_add_co_i32 s0, s16, -1
	s_delay_alu instid0(VALU_DEP_1) | instskip(SKIP_1) | instid1(VALU_DEP_2)
	v_or_b32_e32 v1, 1, v0
	v_cmp_eq_u32_e32 vcc_lo, s0, v0
	v_cmp_gt_u32_e64 s0, s16, v1
	v_mov_b32_e32 v1, 0
	s_and_b32 s1, s1, vcc_lo
	s_branch .LBB76_4
.LBB76_2:                               ;   in Loop: Header=BB76_4 Depth=1
	s_wait_xcnt 0x0
	s_or_b32 exec_lo, exec_lo, s13
.LBB76_3:                               ;   in Loop: Header=BB76_4 Depth=1
	s_add_co_i32 s2, s2, 0x10000
	s_delay_alu instid0(SALU_CYCLE_1)
	s_cmp_lt_u32 s2, s12
	s_cbranch_scc0 .LBB76_9
.LBB76_4:                               ; =>This Inner Loop Header: Depth=1
	s_wait_xcnt 0x0
	s_mul_u64 s[14:15], s[10:11], s[2:3]
	s_delay_alu instid0(SALU_CYCLE_1) | instskip(NEXT) | instid1(SALU_CYCLE_1)
	s_lshl_b64 s[14:15], s[14:15], 1
	s_add_nc_u64 s[14:15], s[8:9], s[14:15]
	global_load_u16 v4, v1, s[14:15]
	s_wait_loadcnt 0x0
	v_cmp_eq_f16_e32 vcc_lo, 1.0, v4
	s_cbranch_vccnz .LBB76_3
; %bb.5:                                ;   in Loop: Header=BB76_4 Depth=1
	s_wait_xcnt 0x0
	s_mul_u64 s[14:15], s[6:7], s[2:3]
	s_delay_alu instid0(SALU_CYCLE_1) | instskip(NEXT) | instid1(SALU_CYCLE_1)
	s_lshl_b64 s[14:15], s[14:15], 1
	s_add_nc_u64 s[14:15], s[4:5], s[14:15]
	s_delay_alu instid0(SALU_CYCLE_1)
	v_lshl_add_u64 v[2:3], v[0:1], 1, s[14:15]
	s_and_saveexec_b32 s13, s0
	s_cbranch_execz .LBB76_7
; %bb.6:                                ;   in Loop: Header=BB76_4 Depth=1
	global_load_b32 v5, v[2:3], off
	s_wait_loadcnt 0x0
	v_pk_mul_f16 v5, v4, v5 op_sel_hi:[0,1]
	global_store_b32 v[2:3], v5, off
.LBB76_7:                               ;   in Loop: Header=BB76_4 Depth=1
	s_wait_xcnt 0x0
	s_or_b32 exec_lo, exec_lo, s13
	s_and_saveexec_b32 s13, s1
	s_cbranch_execz .LBB76_2
; %bb.8:                                ;   in Loop: Header=BB76_4 Depth=1
	global_load_u16 v5, v[2:3], off
	s_wait_loadcnt 0x0
	v_mul_f16_e32 v4, v4, v5
	global_store_b16 v[2:3], v4, off
	s_branch .LBB76_2
.LBB76_9:
	s_endpgm
	.section	.rodata,"a",@progbits
	.p2align	6, 0x0
	.amdhsa_kernel _ZL22rocblas_sscal_2_kernelILi256EDF16_fPKDF16_PDF16_EviT2_lT3_lli
		.amdhsa_group_segment_fixed_size 0
		.amdhsa_private_segment_fixed_size 0
		.amdhsa_kernarg_size 52
		.amdhsa_user_sgpr_count 2
		.amdhsa_user_sgpr_dispatch_ptr 0
		.amdhsa_user_sgpr_queue_ptr 0
		.amdhsa_user_sgpr_kernarg_segment_ptr 1
		.amdhsa_user_sgpr_dispatch_id 0
		.amdhsa_user_sgpr_kernarg_preload_length 0
		.amdhsa_user_sgpr_kernarg_preload_offset 0
		.amdhsa_user_sgpr_private_segment_size 0
		.amdhsa_wavefront_size32 1
		.amdhsa_uses_dynamic_stack 0
		.amdhsa_enable_private_segment 0
		.amdhsa_system_sgpr_workgroup_id_x 1
		.amdhsa_system_sgpr_workgroup_id_y 0
		.amdhsa_system_sgpr_workgroup_id_z 1
		.amdhsa_system_sgpr_workgroup_info 0
		.amdhsa_system_vgpr_workitem_id 0
		.amdhsa_next_free_vgpr 6
		.amdhsa_next_free_sgpr 18
		.amdhsa_named_barrier_count 0
		.amdhsa_reserve_vcc 1
		.amdhsa_float_round_mode_32 0
		.amdhsa_float_round_mode_16_64 0
		.amdhsa_float_denorm_mode_32 3
		.amdhsa_float_denorm_mode_16_64 3
		.amdhsa_fp16_overflow 0
		.amdhsa_memory_ordered 1
		.amdhsa_forward_progress 1
		.amdhsa_inst_pref_size 4
		.amdhsa_round_robin_scheduling 0
		.amdhsa_exception_fp_ieee_invalid_op 0
		.amdhsa_exception_fp_denorm_src 0
		.amdhsa_exception_fp_ieee_div_zero 0
		.amdhsa_exception_fp_ieee_overflow 0
		.amdhsa_exception_fp_ieee_underflow 0
		.amdhsa_exception_fp_ieee_inexact 0
		.amdhsa_exception_int_div_zero 0
	.end_amdhsa_kernel
	.section	.text._ZL22rocblas_sscal_2_kernelILi256EDF16_fPKDF16_PDF16_EviT2_lT3_lli,"axG",@progbits,_ZL22rocblas_sscal_2_kernelILi256EDF16_fPKDF16_PDF16_EviT2_lT3_lli,comdat
.Lfunc_end76:
	.size	_ZL22rocblas_sscal_2_kernelILi256EDF16_fPKDF16_PDF16_EviT2_lT3_lli, .Lfunc_end76-_ZL22rocblas_sscal_2_kernelILi256EDF16_fPKDF16_PDF16_EviT2_lT3_lli
                                        ; -- End function
	.set _ZL22rocblas_sscal_2_kernelILi256EDF16_fPKDF16_PDF16_EviT2_lT3_lli.num_vgpr, 6
	.set _ZL22rocblas_sscal_2_kernelILi256EDF16_fPKDF16_PDF16_EviT2_lT3_lli.num_agpr, 0
	.set _ZL22rocblas_sscal_2_kernelILi256EDF16_fPKDF16_PDF16_EviT2_lT3_lli.numbered_sgpr, 18
	.set _ZL22rocblas_sscal_2_kernelILi256EDF16_fPKDF16_PDF16_EviT2_lT3_lli.num_named_barrier, 0
	.set _ZL22rocblas_sscal_2_kernelILi256EDF16_fPKDF16_PDF16_EviT2_lT3_lli.private_seg_size, 0
	.set _ZL22rocblas_sscal_2_kernelILi256EDF16_fPKDF16_PDF16_EviT2_lT3_lli.uses_vcc, 1
	.set _ZL22rocblas_sscal_2_kernelILi256EDF16_fPKDF16_PDF16_EviT2_lT3_lli.uses_flat_scratch, 0
	.set _ZL22rocblas_sscal_2_kernelILi256EDF16_fPKDF16_PDF16_EviT2_lT3_lli.has_dyn_sized_stack, 0
	.set _ZL22rocblas_sscal_2_kernelILi256EDF16_fPKDF16_PDF16_EviT2_lT3_lli.has_recursion, 0
	.set _ZL22rocblas_sscal_2_kernelILi256EDF16_fPKDF16_PDF16_EviT2_lT3_lli.has_indirect_call, 0
	.section	.AMDGPU.csdata,"",@progbits
; Kernel info:
; codeLenInByte = 412
; TotalNumSgprs: 20
; NumVgprs: 6
; ScratchSize: 0
; MemoryBound: 0
; FloatMode: 240
; IeeeMode: 1
; LDSByteSize: 0 bytes/workgroup (compile time only)
; SGPRBlocks: 0
; VGPRBlocks: 0
; NumSGPRsForWavesPerEU: 20
; NumVGPRsForWavesPerEU: 6
; NamedBarCnt: 0
; Occupancy: 16
; WaveLimiterHint : 0
; COMPUTE_PGM_RSRC2:SCRATCH_EN: 0
; COMPUTE_PGM_RSRC2:USER_SGPR: 2
; COMPUTE_PGM_RSRC2:TRAP_HANDLER: 0
; COMPUTE_PGM_RSRC2:TGID_X_EN: 1
; COMPUTE_PGM_RSRC2:TGID_Y_EN: 0
; COMPUTE_PGM_RSRC2:TGID_Z_EN: 1
; COMPUTE_PGM_RSRC2:TIDIG_COMP_CNT: 0
	.section	.text._ZL22rocblas_sscal_2_kernelILi256EDF16_fDF16_PDF16_EviT2_lT3_lli,"axG",@progbits,_ZL22rocblas_sscal_2_kernelILi256EDF16_fDF16_PDF16_EviT2_lT3_lli,comdat
	.globl	_ZL22rocblas_sscal_2_kernelILi256EDF16_fDF16_PDF16_EviT2_lT3_lli ; -- Begin function _ZL22rocblas_sscal_2_kernelILi256EDF16_fDF16_PDF16_EviT2_lT3_lli
	.p2align	8
	.type	_ZL22rocblas_sscal_2_kernelILi256EDF16_fDF16_PDF16_EviT2_lT3_lli,@function
_ZL22rocblas_sscal_2_kernelILi256EDF16_fDF16_PDF16_EviT2_lT3_lli: ; @_ZL22rocblas_sscal_2_kernelILi256EDF16_fDF16_PDF16_EviT2_lT3_lli
; %bb.0:
	s_load_b32 s10, s[0:1], 0x28
	s_bfe_u32 s2, ttmp6, 0x40014
	s_lshr_b32 s3, ttmp7, 16
	s_add_co_i32 s2, s2, 1
	s_bfe_u32 s4, ttmp6, 0x40008
	s_mul_i32 s2, s3, s2
	s_getreg_b32 s11, hwreg(HW_REG_IB_STS2, 6, 4)
	s_add_co_i32 s4, s4, s2
	s_cmp_eq_u32 s11, 0
	s_cselect_b32 s2, s3, s4
	s_mov_b32 s3, 0
	s_wait_kmcnt 0x0
	s_cmp_ge_u32 s2, s10
	s_cbranch_scc1 .LBB77_9
; %bb.1:
	s_clause 0x1
	s_load_b128 s[4:7], s[0:1], 0x18
	s_load_b64 s[8:9], s[0:1], 0x0
	s_bfe_u32 s12, ttmp6, 0x4000c
	s_and_b32 s14, ttmp6, 15
	s_add_co_i32 s12, s12, 1
	v_dual_mov_b32 v1, 0 :: v_dual_lshlrev_b32 v0, 1, v0
	s_mul_i32 s15, ttmp9, s12
	s_load_b64 s[12:13], s[0:1], 0x10
	s_add_co_i32 s14, s14, s15
	s_wait_kmcnt 0x0
	s_lshl_b64 s[4:5], s[4:5], 1
	s_cmp_eq_u32 s11, 0
	s_cselect_b32 s0, ttmp9, s14
	s_cmp_neq_f16 s9, 0x3c00
	v_lshl_or_b32 v0, s0, 9, v0
	s_add_nc_u64 s[4:5], s[12:13], s[4:5]
	s_cselect_b32 s1, -1, 0
	s_bitcmp1_b32 s8, 0
	s_delay_alu instid0(VALU_DEP_1) | instskip(SKIP_2) | instid1(SALU_CYCLE_1)
	v_or_b32_e32 v2, 1, v0
	s_cselect_b32 s11, -1, 0
	s_add_co_i32 s0, s8, -1
	v_cmp_eq_u32_e32 vcc_lo, s0, v0
	s_delay_alu instid0(VALU_DEP_2)
	v_cmp_gt_u32_e64 s0, s8, v2
	s_and_b32 s8, s11, vcc_lo
	s_pack_ll_b32_b16 s11, s9, s9
	s_branch .LBB77_4
.LBB77_2:                               ;   in Loop: Header=BB77_4 Depth=1
	s_wait_xcnt 0x0
	s_or_b32 exec_lo, exec_lo, s12
.LBB77_3:                               ;   in Loop: Header=BB77_4 Depth=1
	s_add_co_i32 s2, s2, 0x10000
	s_delay_alu instid0(SALU_CYCLE_1)
	s_cmp_lt_u32 s2, s10
	s_cbranch_scc0 .LBB77_9
.LBB77_4:                               ; =>This Inner Loop Header: Depth=1
	s_and_not1_b32 vcc_lo, exec_lo, s1
	s_cbranch_vccnz .LBB77_3
; %bb.5:                                ;   in Loop: Header=BB77_4 Depth=1
	s_mul_u64 s[12:13], s[6:7], s[2:3]
	s_delay_alu instid0(SALU_CYCLE_1) | instskip(NEXT) | instid1(SALU_CYCLE_1)
	s_lshl_b64 s[12:13], s[12:13], 1
	s_add_nc_u64 s[12:13], s[4:5], s[12:13]
	s_delay_alu instid0(SALU_CYCLE_1)
	v_lshl_add_u64 v[2:3], v[0:1], 1, s[12:13]
	s_and_saveexec_b32 s12, s0
	s_cbranch_execz .LBB77_7
; %bb.6:                                ;   in Loop: Header=BB77_4 Depth=1
	global_load_b32 v4, v[2:3], off
	s_wait_loadcnt 0x0
	v_pk_mul_f16 v4, s11, v4
	global_store_b32 v[2:3], v4, off
.LBB77_7:                               ;   in Loop: Header=BB77_4 Depth=1
	s_wait_xcnt 0x0
	s_or_b32 exec_lo, exec_lo, s12
	s_and_saveexec_b32 s12, s8
	s_cbranch_execz .LBB77_2
; %bb.8:                                ;   in Loop: Header=BB77_4 Depth=1
	global_load_u16 v4, v[2:3], off
	s_wait_loadcnt 0x0
	v_mul_f16_e32 v4, s9, v4
	global_store_b16 v[2:3], v4, off
	s_branch .LBB77_2
.LBB77_9:
	s_endpgm
	.section	.rodata,"a",@progbits
	.p2align	6, 0x0
	.amdhsa_kernel _ZL22rocblas_sscal_2_kernelILi256EDF16_fDF16_PDF16_EviT2_lT3_lli
		.amdhsa_group_segment_fixed_size 0
		.amdhsa_private_segment_fixed_size 0
		.amdhsa_kernarg_size 44
		.amdhsa_user_sgpr_count 2
		.amdhsa_user_sgpr_dispatch_ptr 0
		.amdhsa_user_sgpr_queue_ptr 0
		.amdhsa_user_sgpr_kernarg_segment_ptr 1
		.amdhsa_user_sgpr_dispatch_id 0
		.amdhsa_user_sgpr_kernarg_preload_length 0
		.amdhsa_user_sgpr_kernarg_preload_offset 0
		.amdhsa_user_sgpr_private_segment_size 0
		.amdhsa_wavefront_size32 1
		.amdhsa_uses_dynamic_stack 0
		.amdhsa_enable_private_segment 0
		.amdhsa_system_sgpr_workgroup_id_x 1
		.amdhsa_system_sgpr_workgroup_id_y 0
		.amdhsa_system_sgpr_workgroup_id_z 1
		.amdhsa_system_sgpr_workgroup_info 0
		.amdhsa_system_vgpr_workitem_id 0
		.amdhsa_next_free_vgpr 5
		.amdhsa_next_free_sgpr 16
		.amdhsa_named_barrier_count 0
		.amdhsa_reserve_vcc 1
		.amdhsa_float_round_mode_32 0
		.amdhsa_float_round_mode_16_64 0
		.amdhsa_float_denorm_mode_32 3
		.amdhsa_float_denorm_mode_16_64 3
		.amdhsa_fp16_overflow 0
		.amdhsa_memory_ordered 1
		.amdhsa_forward_progress 1
		.amdhsa_inst_pref_size 3
		.amdhsa_round_robin_scheduling 0
		.amdhsa_exception_fp_ieee_invalid_op 0
		.amdhsa_exception_fp_denorm_src 0
		.amdhsa_exception_fp_ieee_div_zero 0
		.amdhsa_exception_fp_ieee_overflow 0
		.amdhsa_exception_fp_ieee_underflow 0
		.amdhsa_exception_fp_ieee_inexact 0
		.amdhsa_exception_int_div_zero 0
	.end_amdhsa_kernel
	.section	.text._ZL22rocblas_sscal_2_kernelILi256EDF16_fDF16_PDF16_EviT2_lT3_lli,"axG",@progbits,_ZL22rocblas_sscal_2_kernelILi256EDF16_fDF16_PDF16_EviT2_lT3_lli,comdat
.Lfunc_end77:
	.size	_ZL22rocblas_sscal_2_kernelILi256EDF16_fDF16_PDF16_EviT2_lT3_lli, .Lfunc_end77-_ZL22rocblas_sscal_2_kernelILi256EDF16_fDF16_PDF16_EviT2_lT3_lli
                                        ; -- End function
	.set _ZL22rocblas_sscal_2_kernelILi256EDF16_fDF16_PDF16_EviT2_lT3_lli.num_vgpr, 5
	.set _ZL22rocblas_sscal_2_kernelILi256EDF16_fDF16_PDF16_EviT2_lT3_lli.num_agpr, 0
	.set _ZL22rocblas_sscal_2_kernelILi256EDF16_fDF16_PDF16_EviT2_lT3_lli.numbered_sgpr, 16
	.set _ZL22rocblas_sscal_2_kernelILi256EDF16_fDF16_PDF16_EviT2_lT3_lli.num_named_barrier, 0
	.set _ZL22rocblas_sscal_2_kernelILi256EDF16_fDF16_PDF16_EviT2_lT3_lli.private_seg_size, 0
	.set _ZL22rocblas_sscal_2_kernelILi256EDF16_fDF16_PDF16_EviT2_lT3_lli.uses_vcc, 1
	.set _ZL22rocblas_sscal_2_kernelILi256EDF16_fDF16_PDF16_EviT2_lT3_lli.uses_flat_scratch, 0
	.set _ZL22rocblas_sscal_2_kernelILi256EDF16_fDF16_PDF16_EviT2_lT3_lli.has_dyn_sized_stack, 0
	.set _ZL22rocblas_sscal_2_kernelILi256EDF16_fDF16_PDF16_EviT2_lT3_lli.has_recursion, 0
	.set _ZL22rocblas_sscal_2_kernelILi256EDF16_fDF16_PDF16_EviT2_lT3_lli.has_indirect_call, 0
	.section	.AMDGPU.csdata,"",@progbits
; Kernel info:
; codeLenInByte = 380
; TotalNumSgprs: 18
; NumVgprs: 5
; ScratchSize: 0
; MemoryBound: 0
; FloatMode: 240
; IeeeMode: 1
; LDSByteSize: 0 bytes/workgroup (compile time only)
; SGPRBlocks: 0
; VGPRBlocks: 0
; NumSGPRsForWavesPerEU: 18
; NumVGPRsForWavesPerEU: 5
; NamedBarCnt: 0
; Occupancy: 16
; WaveLimiterHint : 0
; COMPUTE_PGM_RSRC2:SCRATCH_EN: 0
; COMPUTE_PGM_RSRC2:USER_SGPR: 2
; COMPUTE_PGM_RSRC2:TRAP_HANDLER: 0
; COMPUTE_PGM_RSRC2:TGID_X_EN: 1
; COMPUTE_PGM_RSRC2:TGID_Y_EN: 0
; COMPUTE_PGM_RSRC2:TGID_Z_EN: 1
; COMPUTE_PGM_RSRC2:TIDIG_COMP_CNT: 0
	.section	.text._ZL19rocblas_scal_kernelIiLi256EDF16_fPKDF16_PDF16_EviT3_lT4_lT_li,"axG",@progbits,_ZL19rocblas_scal_kernelIiLi256EDF16_fPKDF16_PDF16_EviT3_lT4_lT_li,comdat
	.globl	_ZL19rocblas_scal_kernelIiLi256EDF16_fPKDF16_PDF16_EviT3_lT4_lT_li ; -- Begin function _ZL19rocblas_scal_kernelIiLi256EDF16_fPKDF16_PDF16_EviT3_lT4_lT_li
	.p2align	8
	.type	_ZL19rocblas_scal_kernelIiLi256EDF16_fPKDF16_PDF16_EviT3_lT4_lT_li,@function
_ZL19rocblas_scal_kernelIiLi256EDF16_fPKDF16_PDF16_EviT3_lT4_lT_li: ; @_ZL19rocblas_scal_kernelIiLi256EDF16_fPKDF16_PDF16_EviT3_lT4_lT_li
; %bb.0:
	s_load_b32 s14, s[0:1], 0x38
	s_bfe_u32 s2, ttmp6, 0x40014
	s_lshr_b32 s3, ttmp7, 16
	s_add_co_i32 s2, s2, 1
	s_bfe_u32 s4, ttmp6, 0x40008
	s_mul_i32 s2, s3, s2
	s_getreg_b32 s15, hwreg(HW_REG_IB_STS2, 6, 4)
	s_add_co_i32 s4, s4, s2
	s_cmp_eq_u32 s15, 0
	s_cselect_b32 s2, s3, s4
	s_mov_b32 s3, 0
	s_wait_kmcnt 0x0
	s_cmp_ge_u32 s2, s14
	s_cbranch_scc1 .LBB78_5
; %bb.1:
	s_clause 0x1
	s_load_b32 s16, s[0:1], 0x28
	s_load_b256 s[4:11], s[0:1], 0x8
	s_bfe_u32 s12, ttmp6, 0x4000c
	s_and_b32 s17, ttmp6, 15
	s_add_co_i32 s12, s12, 1
	v_mov_b32_e32 v1, 0
	s_mul_i32 s18, ttmp9, s12
	s_load_b64 s[12:13], s[0:1], 0x30
	s_add_co_i32 s18, s17, s18
	s_wait_kmcnt 0x0
	s_ashr_i32 s17, s16, 31
	s_lshl_b64 s[10:11], s[10:11], 1
	s_cmp_eq_u32 s15, 0
	s_cselect_b32 s15, ttmp9, s18
	s_delay_alu instid0(SALU_CYCLE_1) | instskip(SKIP_3) | instid1(VALU_DEP_1)
	v_lshl_or_b32 v0, s15, 8, v0
	s_load_b32 s15, s[0:1], 0x0
	s_wait_xcnt 0x0
	s_add_nc_u64 s[0:1], s[8:9], s[10:11]
	v_mul_u64_e32 v[2:3], s[16:17], v[0:1]
	s_wait_kmcnt 0x0
	v_cmp_gt_u32_e32 vcc_lo, s15, v0
	s_delay_alu instid0(VALU_DEP_2)
	v_lshl_add_u64 v[2:3], v[2:3], 1, s[0:1]
	s_branch .LBB78_3
.LBB78_2:                               ;   in Loop: Header=BB78_3 Depth=1
	s_wait_xcnt 0x0
	s_or_b32 exec_lo, exec_lo, s0
	s_add_co_i32 s2, s2, 0x10000
	s_delay_alu instid0(SALU_CYCLE_1)
	s_cmp_lt_u32 s2, s14
	s_cbranch_scc0 .LBB78_5
.LBB78_3:                               ; =>This Inner Loop Header: Depth=1
	s_mul_u64 s[0:1], s[6:7], s[2:3]
	s_delay_alu instid0(SALU_CYCLE_1) | instskip(NEXT) | instid1(SALU_CYCLE_1)
	s_lshl_b64 s[0:1], s[0:1], 1
	s_add_nc_u64 s[0:1], s[4:5], s[0:1]
	global_load_u16 v0, v1, s[0:1]
	s_wait_loadcnt 0x0
	s_wait_xcnt 0x0
	v_readfirstlane_b32 s0, v0
	s_cmp_neq_f16 s0, 0x3c00
	s_cselect_b32 s0, -1, 0
	s_delay_alu instid0(SALU_CYCLE_1) | instskip(NEXT) | instid1(SALU_CYCLE_1)
	s_and_b32 s1, vcc_lo, s0
	s_and_saveexec_b32 s0, s1
	s_cbranch_execz .LBB78_2
; %bb.4:                                ;   in Loop: Header=BB78_3 Depth=1
	s_mul_u64 s[8:9], s[12:13], s[2:3]
	s_delay_alu instid0(SALU_CYCLE_1)
	v_lshl_add_u64 v[4:5], s[8:9], 1, v[2:3]
	global_load_u16 v6, v[4:5], off
	s_wait_loadcnt 0x0
	v_mul_f16_e32 v0, v0, v6
	global_store_b16 v[4:5], v0, off
	s_branch .LBB78_2
.LBB78_5:
	s_endpgm
	.section	.rodata,"a",@progbits
	.p2align	6, 0x0
	.amdhsa_kernel _ZL19rocblas_scal_kernelIiLi256EDF16_fPKDF16_PDF16_EviT3_lT4_lT_li
		.amdhsa_group_segment_fixed_size 0
		.amdhsa_private_segment_fixed_size 0
		.amdhsa_kernarg_size 60
		.amdhsa_user_sgpr_count 2
		.amdhsa_user_sgpr_dispatch_ptr 0
		.amdhsa_user_sgpr_queue_ptr 0
		.amdhsa_user_sgpr_kernarg_segment_ptr 1
		.amdhsa_user_sgpr_dispatch_id 0
		.amdhsa_user_sgpr_kernarg_preload_length 0
		.amdhsa_user_sgpr_kernarg_preload_offset 0
		.amdhsa_user_sgpr_private_segment_size 0
		.amdhsa_wavefront_size32 1
		.amdhsa_uses_dynamic_stack 0
		.amdhsa_enable_private_segment 0
		.amdhsa_system_sgpr_workgroup_id_x 1
		.amdhsa_system_sgpr_workgroup_id_y 0
		.amdhsa_system_sgpr_workgroup_id_z 1
		.amdhsa_system_sgpr_workgroup_info 0
		.amdhsa_system_vgpr_workitem_id 0
		.amdhsa_next_free_vgpr 7
		.amdhsa_next_free_sgpr 19
		.amdhsa_named_barrier_count 0
		.amdhsa_reserve_vcc 1
		.amdhsa_float_round_mode_32 0
		.amdhsa_float_round_mode_16_64 0
		.amdhsa_float_denorm_mode_32 3
		.amdhsa_float_denorm_mode_16_64 3
		.amdhsa_fp16_overflow 0
		.amdhsa_memory_ordered 1
		.amdhsa_forward_progress 1
		.amdhsa_inst_pref_size 3
		.amdhsa_round_robin_scheduling 0
		.amdhsa_exception_fp_ieee_invalid_op 0
		.amdhsa_exception_fp_denorm_src 0
		.amdhsa_exception_fp_ieee_div_zero 0
		.amdhsa_exception_fp_ieee_overflow 0
		.amdhsa_exception_fp_ieee_underflow 0
		.amdhsa_exception_fp_ieee_inexact 0
		.amdhsa_exception_int_div_zero 0
	.end_amdhsa_kernel
	.section	.text._ZL19rocblas_scal_kernelIiLi256EDF16_fPKDF16_PDF16_EviT3_lT4_lT_li,"axG",@progbits,_ZL19rocblas_scal_kernelIiLi256EDF16_fPKDF16_PDF16_EviT3_lT4_lT_li,comdat
.Lfunc_end78:
	.size	_ZL19rocblas_scal_kernelIiLi256EDF16_fPKDF16_PDF16_EviT3_lT4_lT_li, .Lfunc_end78-_ZL19rocblas_scal_kernelIiLi256EDF16_fPKDF16_PDF16_EviT3_lT4_lT_li
                                        ; -- End function
	.set _ZL19rocblas_scal_kernelIiLi256EDF16_fPKDF16_PDF16_EviT3_lT4_lT_li.num_vgpr, 7
	.set _ZL19rocblas_scal_kernelIiLi256EDF16_fPKDF16_PDF16_EviT3_lT4_lT_li.num_agpr, 0
	.set _ZL19rocblas_scal_kernelIiLi256EDF16_fPKDF16_PDF16_EviT3_lT4_lT_li.numbered_sgpr, 19
	.set _ZL19rocblas_scal_kernelIiLi256EDF16_fPKDF16_PDF16_EviT3_lT4_lT_li.num_named_barrier, 0
	.set _ZL19rocblas_scal_kernelIiLi256EDF16_fPKDF16_PDF16_EviT3_lT4_lT_li.private_seg_size, 0
	.set _ZL19rocblas_scal_kernelIiLi256EDF16_fPKDF16_PDF16_EviT3_lT4_lT_li.uses_vcc, 1
	.set _ZL19rocblas_scal_kernelIiLi256EDF16_fPKDF16_PDF16_EviT3_lT4_lT_li.uses_flat_scratch, 0
	.set _ZL19rocblas_scal_kernelIiLi256EDF16_fPKDF16_PDF16_EviT3_lT4_lT_li.has_dyn_sized_stack, 0
	.set _ZL19rocblas_scal_kernelIiLi256EDF16_fPKDF16_PDF16_EviT3_lT4_lT_li.has_recursion, 0
	.set _ZL19rocblas_scal_kernelIiLi256EDF16_fPKDF16_PDF16_EviT3_lT4_lT_li.has_indirect_call, 0
	.section	.AMDGPU.csdata,"",@progbits
; Kernel info:
; codeLenInByte = 352
; TotalNumSgprs: 21
; NumVgprs: 7
; ScratchSize: 0
; MemoryBound: 0
; FloatMode: 240
; IeeeMode: 1
; LDSByteSize: 0 bytes/workgroup (compile time only)
; SGPRBlocks: 0
; VGPRBlocks: 0
; NumSGPRsForWavesPerEU: 21
; NumVGPRsForWavesPerEU: 7
; NamedBarCnt: 0
; Occupancy: 16
; WaveLimiterHint : 0
; COMPUTE_PGM_RSRC2:SCRATCH_EN: 0
; COMPUTE_PGM_RSRC2:USER_SGPR: 2
; COMPUTE_PGM_RSRC2:TRAP_HANDLER: 0
; COMPUTE_PGM_RSRC2:TGID_X_EN: 1
; COMPUTE_PGM_RSRC2:TGID_Y_EN: 0
; COMPUTE_PGM_RSRC2:TGID_Z_EN: 1
; COMPUTE_PGM_RSRC2:TIDIG_COMP_CNT: 0
	.section	.text._ZL19rocblas_scal_kernelIiLi256EDF16_fDF16_PDF16_EviT3_lT4_lT_li,"axG",@progbits,_ZL19rocblas_scal_kernelIiLi256EDF16_fDF16_PDF16_EviT3_lT4_lT_li,comdat
	.globl	_ZL19rocblas_scal_kernelIiLi256EDF16_fDF16_PDF16_EviT3_lT4_lT_li ; -- Begin function _ZL19rocblas_scal_kernelIiLi256EDF16_fDF16_PDF16_EviT3_lT4_lT_li
	.p2align	8
	.type	_ZL19rocblas_scal_kernelIiLi256EDF16_fDF16_PDF16_EviT3_lT4_lT_li,@function
_ZL19rocblas_scal_kernelIiLi256EDF16_fDF16_PDF16_EviT3_lT4_lT_li: ; @_ZL19rocblas_scal_kernelIiLi256EDF16_fDF16_PDF16_EviT3_lT4_lT_li
; %bb.0:
	s_load_b32 s6, s[0:1], 0x30
	s_bfe_u32 s2, ttmp6, 0x40014
	s_lshr_b32 s3, ttmp7, 16
	s_add_co_i32 s2, s2, 1
	s_bfe_u32 s4, ttmp6, 0x40008
	s_mul_i32 s2, s3, s2
	s_getreg_b32 s7, hwreg(HW_REG_IB_STS2, 6, 4)
	s_add_co_i32 s4, s4, s2
	s_cmp_eq_u32 s7, 0
	s_cselect_b32 s2, s3, s4
	s_mov_b32 s3, 0
	s_wait_kmcnt 0x0
	s_cmp_ge_u32 s2, s6
	s_cbranch_scc1 .LBB79_5
; %bb.1:
	s_clause 0x1
	s_load_b32 s12, s[0:1], 0x20
	s_load_b128 s[8:11], s[0:1], 0x10
	s_bfe_u32 s4, ttmp6, 0x4000c
	s_and_b32 s13, ttmp6, 15
	s_add_co_i32 s4, s4, 1
	v_mov_b32_e32 v1, 0
	s_mul_i32 s14, ttmp9, s4
	s_load_b64 s[4:5], s[0:1], 0x28
	s_add_co_i32 s14, s13, s14
	s_wait_xcnt 0x0
	s_load_b64 s[0:1], s[0:1], 0x0
	s_wait_kmcnt 0x0
	s_ashr_i32 s13, s12, 31
	s_lshl_b64 s[10:11], s[10:11], 1
	s_cmp_eq_u32 s7, 0
	s_add_nc_u64 s[8:9], s[8:9], s[10:11]
	s_cselect_b32 s7, ttmp9, s14
	s_delay_alu instid0(SALU_CYCLE_1) | instskip(SKIP_1) | instid1(VALU_DEP_1)
	v_lshl_or_b32 v0, s7, 8, v0
	s_cmp_neq_f16 s1, 0x3c00
	v_mul_u64_e32 v[2:3], s[12:13], v[0:1]
	v_cmp_gt_u32_e32 vcc_lo, s0, v0
	s_cselect_b32 s0, -1, 0
	s_delay_alu instid0(SALU_CYCLE_1) | instskip(NEXT) | instid1(VALU_DEP_2)
	s_and_b32 s0, vcc_lo, s0
	v_lshl_add_u64 v[0:1], v[2:3], 1, s[8:9]
	s_branch .LBB79_3
.LBB79_2:                               ;   in Loop: Header=BB79_3 Depth=1
	s_wait_xcnt 0x0
	s_or_b32 exec_lo, exec_lo, s7
	s_add_co_i32 s2, s2, 0x10000
	s_delay_alu instid0(SALU_CYCLE_1)
	s_cmp_lt_u32 s2, s6
	s_cbranch_scc0 .LBB79_5
.LBB79_3:                               ; =>This Inner Loop Header: Depth=1
	s_and_saveexec_b32 s7, s0
	s_cbranch_execz .LBB79_2
; %bb.4:                                ;   in Loop: Header=BB79_3 Depth=1
	s_mul_u64 s[8:9], s[4:5], s[2:3]
	s_delay_alu instid0(SALU_CYCLE_1)
	v_lshl_add_u64 v[2:3], s[8:9], 1, v[0:1]
	global_load_u16 v4, v[2:3], off
	s_wait_loadcnt 0x0
	v_mul_f16_e32 v4, s1, v4
	global_store_b16 v[2:3], v4, off
	s_branch .LBB79_2
.LBB79_5:
	s_endpgm
	.section	.rodata,"a",@progbits
	.p2align	6, 0x0
	.amdhsa_kernel _ZL19rocblas_scal_kernelIiLi256EDF16_fDF16_PDF16_EviT3_lT4_lT_li
		.amdhsa_group_segment_fixed_size 0
		.amdhsa_private_segment_fixed_size 0
		.amdhsa_kernarg_size 52
		.amdhsa_user_sgpr_count 2
		.amdhsa_user_sgpr_dispatch_ptr 0
		.amdhsa_user_sgpr_queue_ptr 0
		.amdhsa_user_sgpr_kernarg_segment_ptr 1
		.amdhsa_user_sgpr_dispatch_id 0
		.amdhsa_user_sgpr_kernarg_preload_length 0
		.amdhsa_user_sgpr_kernarg_preload_offset 0
		.amdhsa_user_sgpr_private_segment_size 0
		.amdhsa_wavefront_size32 1
		.amdhsa_uses_dynamic_stack 0
		.amdhsa_enable_private_segment 0
		.amdhsa_system_sgpr_workgroup_id_x 1
		.amdhsa_system_sgpr_workgroup_id_y 0
		.amdhsa_system_sgpr_workgroup_id_z 1
		.amdhsa_system_sgpr_workgroup_info 0
		.amdhsa_system_vgpr_workitem_id 0
		.amdhsa_next_free_vgpr 5
		.amdhsa_next_free_sgpr 15
		.amdhsa_named_barrier_count 0
		.amdhsa_reserve_vcc 1
		.amdhsa_float_round_mode_32 0
		.amdhsa_float_round_mode_16_64 0
		.amdhsa_float_denorm_mode_32 3
		.amdhsa_float_denorm_mode_16_64 3
		.amdhsa_fp16_overflow 0
		.amdhsa_memory_ordered 1
		.amdhsa_forward_progress 1
		.amdhsa_inst_pref_size 3
		.amdhsa_round_robin_scheduling 0
		.amdhsa_exception_fp_ieee_invalid_op 0
		.amdhsa_exception_fp_denorm_src 0
		.amdhsa_exception_fp_ieee_div_zero 0
		.amdhsa_exception_fp_ieee_overflow 0
		.amdhsa_exception_fp_ieee_underflow 0
		.amdhsa_exception_fp_ieee_inexact 0
		.amdhsa_exception_int_div_zero 0
	.end_amdhsa_kernel
	.section	.text._ZL19rocblas_scal_kernelIiLi256EDF16_fDF16_PDF16_EviT3_lT4_lT_li,"axG",@progbits,_ZL19rocblas_scal_kernelIiLi256EDF16_fDF16_PDF16_EviT3_lT4_lT_li,comdat
.Lfunc_end79:
	.size	_ZL19rocblas_scal_kernelIiLi256EDF16_fDF16_PDF16_EviT3_lT4_lT_li, .Lfunc_end79-_ZL19rocblas_scal_kernelIiLi256EDF16_fDF16_PDF16_EviT3_lT4_lT_li
                                        ; -- End function
	.set _ZL19rocblas_scal_kernelIiLi256EDF16_fDF16_PDF16_EviT3_lT4_lT_li.num_vgpr, 5
	.set _ZL19rocblas_scal_kernelIiLi256EDF16_fDF16_PDF16_EviT3_lT4_lT_li.num_agpr, 0
	.set _ZL19rocblas_scal_kernelIiLi256EDF16_fDF16_PDF16_EviT3_lT4_lT_li.numbered_sgpr, 15
	.set _ZL19rocblas_scal_kernelIiLi256EDF16_fDF16_PDF16_EviT3_lT4_lT_li.num_named_barrier, 0
	.set _ZL19rocblas_scal_kernelIiLi256EDF16_fDF16_PDF16_EviT3_lT4_lT_li.private_seg_size, 0
	.set _ZL19rocblas_scal_kernelIiLi256EDF16_fDF16_PDF16_EviT3_lT4_lT_li.uses_vcc, 1
	.set _ZL19rocblas_scal_kernelIiLi256EDF16_fDF16_PDF16_EviT3_lT4_lT_li.uses_flat_scratch, 0
	.set _ZL19rocblas_scal_kernelIiLi256EDF16_fDF16_PDF16_EviT3_lT4_lT_li.has_dyn_sized_stack, 0
	.set _ZL19rocblas_scal_kernelIiLi256EDF16_fDF16_PDF16_EviT3_lT4_lT_li.has_recursion, 0
	.set _ZL19rocblas_scal_kernelIiLi256EDF16_fDF16_PDF16_EviT3_lT4_lT_li.has_indirect_call, 0
	.section	.AMDGPU.csdata,"",@progbits
; Kernel info:
; codeLenInByte = 304
; TotalNumSgprs: 17
; NumVgprs: 5
; ScratchSize: 0
; MemoryBound: 0
; FloatMode: 240
; IeeeMode: 1
; LDSByteSize: 0 bytes/workgroup (compile time only)
; SGPRBlocks: 0
; VGPRBlocks: 0
; NumSGPRsForWavesPerEU: 17
; NumVGPRsForWavesPerEU: 5
; NamedBarCnt: 0
; Occupancy: 16
; WaveLimiterHint : 0
; COMPUTE_PGM_RSRC2:SCRATCH_EN: 0
; COMPUTE_PGM_RSRC2:USER_SGPR: 2
; COMPUTE_PGM_RSRC2:TRAP_HANDLER: 0
; COMPUTE_PGM_RSRC2:TGID_X_EN: 1
; COMPUTE_PGM_RSRC2:TGID_Y_EN: 0
; COMPUTE_PGM_RSRC2:TGID_Z_EN: 1
; COMPUTE_PGM_RSRC2:TIDIG_COMP_CNT: 0
	.section	.text._ZL19rocblas_scal_kernelIlLi256EDF16_fPKDF16_PDF16_EviT3_lT4_lT_li,"axG",@progbits,_ZL19rocblas_scal_kernelIlLi256EDF16_fPKDF16_PDF16_EviT3_lT4_lT_li,comdat
	.globl	_ZL19rocblas_scal_kernelIlLi256EDF16_fPKDF16_PDF16_EviT3_lT4_lT_li ; -- Begin function _ZL19rocblas_scal_kernelIlLi256EDF16_fPKDF16_PDF16_EviT3_lT4_lT_li
	.p2align	8
	.type	_ZL19rocblas_scal_kernelIlLi256EDF16_fPKDF16_PDF16_EviT3_lT4_lT_li,@function
_ZL19rocblas_scal_kernelIlLi256EDF16_fPKDF16_PDF16_EviT3_lT4_lT_li: ; @_ZL19rocblas_scal_kernelIlLi256EDF16_fPKDF16_PDF16_EviT3_lT4_lT_li
; %bb.0:
	s_load_b32 s16, s[0:1], 0x38
	s_bfe_u32 s2, ttmp6, 0x40014
	s_lshr_b32 s3, ttmp7, 16
	s_add_co_i32 s2, s2, 1
	s_bfe_u32 s4, ttmp6, 0x40008
	s_mul_i32 s2, s3, s2
	s_getreg_b32 s17, hwreg(HW_REG_IB_STS2, 6, 4)
	s_add_co_i32 s4, s4, s2
	s_cmp_eq_u32 s17, 0
	s_cselect_b32 s2, s3, s4
	s_mov_b32 s3, 0
	s_wait_kmcnt 0x0
	s_cmp_ge_u32 s2, s16
	s_cbranch_scc1 .LBB80_5
; %bb.1:
	s_clause 0x1
	s_load_b256 s[4:11], s[0:1], 0x8
	s_load_b128 s[12:15], s[0:1], 0x28
	s_bfe_u32 s18, ttmp6, 0x4000c
	s_and_b32 s19, ttmp6, 15
	s_add_co_i32 s18, s18, 1
	v_mov_b32_e32 v1, 0
	s_mul_i32 s18, ttmp9, s18
	s_delay_alu instid0(SALU_CYCLE_1) | instskip(SKIP_4) | instid1(SALU_CYCLE_1)
	s_add_co_i32 s19, s19, s18
	s_wait_kmcnt 0x0
	s_lshl_b64 s[10:11], s[10:11], 1
	s_cmp_eq_u32 s17, 0
	s_cselect_b32 s17, ttmp9, s19
	v_lshl_or_b32 v0, s17, 8, v0
	s_delay_alu instid0(VALU_DEP_1)
	v_mul_u64_e32 v[2:3], s[12:13], v[0:1]
	s_load_b32 s12, s[0:1], 0x0
	s_wait_xcnt 0x0
	s_add_nc_u64 s[0:1], s[8:9], s[10:11]
	s_wait_kmcnt 0x0
	v_cmp_gt_u32_e32 vcc_lo, s12, v0
	s_delay_alu instid0(VALU_DEP_2)
	v_lshl_add_u64 v[2:3], v[2:3], 1, s[0:1]
	s_branch .LBB80_3
.LBB80_2:                               ;   in Loop: Header=BB80_3 Depth=1
	s_wait_xcnt 0x0
	s_or_b32 exec_lo, exec_lo, s0
	s_add_co_i32 s2, s2, 0x10000
	s_delay_alu instid0(SALU_CYCLE_1)
	s_cmp_lt_u32 s2, s16
	s_cbranch_scc0 .LBB80_5
.LBB80_3:                               ; =>This Inner Loop Header: Depth=1
	s_mul_u64 s[0:1], s[6:7], s[2:3]
	s_delay_alu instid0(SALU_CYCLE_1) | instskip(NEXT) | instid1(SALU_CYCLE_1)
	s_lshl_b64 s[0:1], s[0:1], 1
	s_add_nc_u64 s[0:1], s[4:5], s[0:1]
	global_load_u16 v0, v1, s[0:1]
	s_wait_loadcnt 0x0
	s_wait_xcnt 0x0
	v_readfirstlane_b32 s0, v0
	s_cmp_neq_f16 s0, 0x3c00
	s_cselect_b32 s0, -1, 0
	s_delay_alu instid0(SALU_CYCLE_1) | instskip(NEXT) | instid1(SALU_CYCLE_1)
	s_and_b32 s1, vcc_lo, s0
	s_and_saveexec_b32 s0, s1
	s_cbranch_execz .LBB80_2
; %bb.4:                                ;   in Loop: Header=BB80_3 Depth=1
	s_mul_u64 s[8:9], s[14:15], s[2:3]
	s_delay_alu instid0(SALU_CYCLE_1)
	v_lshl_add_u64 v[4:5], s[8:9], 1, v[2:3]
	global_load_u16 v6, v[4:5], off
	s_wait_loadcnt 0x0
	v_mul_f16_e32 v0, v0, v6
	global_store_b16 v[4:5], v0, off
	s_branch .LBB80_2
.LBB80_5:
	s_endpgm
	.section	.rodata,"a",@progbits
	.p2align	6, 0x0
	.amdhsa_kernel _ZL19rocblas_scal_kernelIlLi256EDF16_fPKDF16_PDF16_EviT3_lT4_lT_li
		.amdhsa_group_segment_fixed_size 0
		.amdhsa_private_segment_fixed_size 0
		.amdhsa_kernarg_size 60
		.amdhsa_user_sgpr_count 2
		.amdhsa_user_sgpr_dispatch_ptr 0
		.amdhsa_user_sgpr_queue_ptr 0
		.amdhsa_user_sgpr_kernarg_segment_ptr 1
		.amdhsa_user_sgpr_dispatch_id 0
		.amdhsa_user_sgpr_kernarg_preload_length 0
		.amdhsa_user_sgpr_kernarg_preload_offset 0
		.amdhsa_user_sgpr_private_segment_size 0
		.amdhsa_wavefront_size32 1
		.amdhsa_uses_dynamic_stack 0
		.amdhsa_enable_private_segment 0
		.amdhsa_system_sgpr_workgroup_id_x 1
		.amdhsa_system_sgpr_workgroup_id_y 0
		.amdhsa_system_sgpr_workgroup_id_z 1
		.amdhsa_system_sgpr_workgroup_info 0
		.amdhsa_system_vgpr_workitem_id 0
		.amdhsa_next_free_vgpr 7
		.amdhsa_next_free_sgpr 20
		.amdhsa_named_barrier_count 0
		.amdhsa_reserve_vcc 1
		.amdhsa_float_round_mode_32 0
		.amdhsa_float_round_mode_16_64 0
		.amdhsa_float_denorm_mode_32 3
		.amdhsa_float_denorm_mode_16_64 3
		.amdhsa_fp16_overflow 0
		.amdhsa_memory_ordered 1
		.amdhsa_forward_progress 1
		.amdhsa_inst_pref_size 3
		.amdhsa_round_robin_scheduling 0
		.amdhsa_exception_fp_ieee_invalid_op 0
		.amdhsa_exception_fp_denorm_src 0
		.amdhsa_exception_fp_ieee_div_zero 0
		.amdhsa_exception_fp_ieee_overflow 0
		.amdhsa_exception_fp_ieee_underflow 0
		.amdhsa_exception_fp_ieee_inexact 0
		.amdhsa_exception_int_div_zero 0
	.end_amdhsa_kernel
	.section	.text._ZL19rocblas_scal_kernelIlLi256EDF16_fPKDF16_PDF16_EviT3_lT4_lT_li,"axG",@progbits,_ZL19rocblas_scal_kernelIlLi256EDF16_fPKDF16_PDF16_EviT3_lT4_lT_li,comdat
.Lfunc_end80:
	.size	_ZL19rocblas_scal_kernelIlLi256EDF16_fPKDF16_PDF16_EviT3_lT4_lT_li, .Lfunc_end80-_ZL19rocblas_scal_kernelIlLi256EDF16_fPKDF16_PDF16_EviT3_lT4_lT_li
                                        ; -- End function
	.set _ZL19rocblas_scal_kernelIlLi256EDF16_fPKDF16_PDF16_EviT3_lT4_lT_li.num_vgpr, 7
	.set _ZL19rocblas_scal_kernelIlLi256EDF16_fPKDF16_PDF16_EviT3_lT4_lT_li.num_agpr, 0
	.set _ZL19rocblas_scal_kernelIlLi256EDF16_fPKDF16_PDF16_EviT3_lT4_lT_li.numbered_sgpr, 20
	.set _ZL19rocblas_scal_kernelIlLi256EDF16_fPKDF16_PDF16_EviT3_lT4_lT_li.num_named_barrier, 0
	.set _ZL19rocblas_scal_kernelIlLi256EDF16_fPKDF16_PDF16_EviT3_lT4_lT_li.private_seg_size, 0
	.set _ZL19rocblas_scal_kernelIlLi256EDF16_fPKDF16_PDF16_EviT3_lT4_lT_li.uses_vcc, 1
	.set _ZL19rocblas_scal_kernelIlLi256EDF16_fPKDF16_PDF16_EviT3_lT4_lT_li.uses_flat_scratch, 0
	.set _ZL19rocblas_scal_kernelIlLi256EDF16_fPKDF16_PDF16_EviT3_lT4_lT_li.has_dyn_sized_stack, 0
	.set _ZL19rocblas_scal_kernelIlLi256EDF16_fPKDF16_PDF16_EviT3_lT4_lT_li.has_recursion, 0
	.set _ZL19rocblas_scal_kernelIlLi256EDF16_fPKDF16_PDF16_EviT3_lT4_lT_li.has_indirect_call, 0
	.section	.AMDGPU.csdata,"",@progbits
; Kernel info:
; codeLenInByte = 344
; TotalNumSgprs: 22
; NumVgprs: 7
; ScratchSize: 0
; MemoryBound: 0
; FloatMode: 240
; IeeeMode: 1
; LDSByteSize: 0 bytes/workgroup (compile time only)
; SGPRBlocks: 0
; VGPRBlocks: 0
; NumSGPRsForWavesPerEU: 22
; NumVGPRsForWavesPerEU: 7
; NamedBarCnt: 0
; Occupancy: 16
; WaveLimiterHint : 0
; COMPUTE_PGM_RSRC2:SCRATCH_EN: 0
; COMPUTE_PGM_RSRC2:USER_SGPR: 2
; COMPUTE_PGM_RSRC2:TRAP_HANDLER: 0
; COMPUTE_PGM_RSRC2:TGID_X_EN: 1
; COMPUTE_PGM_RSRC2:TGID_Y_EN: 0
; COMPUTE_PGM_RSRC2:TGID_Z_EN: 1
; COMPUTE_PGM_RSRC2:TIDIG_COMP_CNT: 0
	.section	.text._ZL19rocblas_scal_kernelIlLi256EDF16_fDF16_PDF16_EviT3_lT4_lT_li,"axG",@progbits,_ZL19rocblas_scal_kernelIlLi256EDF16_fDF16_PDF16_EviT3_lT4_lT_li,comdat
	.globl	_ZL19rocblas_scal_kernelIlLi256EDF16_fDF16_PDF16_EviT3_lT4_lT_li ; -- Begin function _ZL19rocblas_scal_kernelIlLi256EDF16_fDF16_PDF16_EviT3_lT4_lT_li
	.p2align	8
	.type	_ZL19rocblas_scal_kernelIlLi256EDF16_fDF16_PDF16_EviT3_lT4_lT_li,@function
_ZL19rocblas_scal_kernelIlLi256EDF16_fDF16_PDF16_EviT3_lT4_lT_li: ; @_ZL19rocblas_scal_kernelIlLi256EDF16_fDF16_PDF16_EviT3_lT4_lT_li
; %bb.0:
	s_load_b32 s12, s[0:1], 0x30
	s_bfe_u32 s2, ttmp6, 0x40014
	s_lshr_b32 s3, ttmp7, 16
	s_add_co_i32 s2, s2, 1
	s_bfe_u32 s4, ttmp6, 0x40008
	s_mul_i32 s2, s3, s2
	s_getreg_b32 s13, hwreg(HW_REG_IB_STS2, 6, 4)
	s_add_co_i32 s4, s4, s2
	s_cmp_eq_u32 s13, 0
	s_cselect_b32 s2, s3, s4
	s_mov_b32 s3, 0
	s_wait_kmcnt 0x0
	s_cmp_ge_u32 s2, s12
	s_cbranch_scc1 .LBB81_5
; %bb.1:
	s_load_b256 s[4:11], s[0:1], 0x10
	s_bfe_u32 s14, ttmp6, 0x4000c
	s_and_b32 s15, ttmp6, 15
	s_add_co_i32 s14, s14, 1
	v_mov_b32_e32 v1, 0
	s_mul_i32 s14, ttmp9, s14
	s_wait_xcnt 0x0
	s_load_b64 s[0:1], s[0:1], 0x0
	s_add_co_i32 s15, s15, s14
	s_wait_kmcnt 0x0
	s_lshl_b64 s[6:7], s[6:7], 1
	s_cmp_eq_u32 s13, 0
	s_add_nc_u64 s[4:5], s[4:5], s[6:7]
	s_cselect_b32 s13, ttmp9, s15
	s_delay_alu instid0(SALU_CYCLE_1) | instskip(SKIP_1) | instid1(VALU_DEP_1)
	v_lshl_or_b32 v0, s13, 8, v0
	s_cmp_neq_f16 s1, 0x3c00
	v_mul_u64_e32 v[2:3], s[8:9], v[0:1]
	v_cmp_gt_u32_e32 vcc_lo, s0, v0
	s_cselect_b32 s0, -1, 0
	s_delay_alu instid0(SALU_CYCLE_1) | instskip(NEXT) | instid1(VALU_DEP_2)
	s_and_b32 s0, vcc_lo, s0
	v_lshl_add_u64 v[0:1], v[2:3], 1, s[4:5]
	s_branch .LBB81_3
.LBB81_2:                               ;   in Loop: Header=BB81_3 Depth=1
	s_wait_xcnt 0x0
	s_or_b32 exec_lo, exec_lo, s4
	s_add_co_i32 s2, s2, 0x10000
	s_delay_alu instid0(SALU_CYCLE_1)
	s_cmp_lt_u32 s2, s12
	s_cbranch_scc0 .LBB81_5
.LBB81_3:                               ; =>This Inner Loop Header: Depth=1
	s_and_saveexec_b32 s4, s0
	s_cbranch_execz .LBB81_2
; %bb.4:                                ;   in Loop: Header=BB81_3 Depth=1
	s_mul_u64 s[6:7], s[10:11], s[2:3]
	s_delay_alu instid0(SALU_CYCLE_1)
	v_lshl_add_u64 v[2:3], s[6:7], 1, v[0:1]
	global_load_u16 v4, v[2:3], off
	s_wait_loadcnt 0x0
	v_mul_f16_e32 v4, s1, v4
	global_store_b16 v[2:3], v4, off
	s_branch .LBB81_2
.LBB81_5:
	s_endpgm
	.section	.rodata,"a",@progbits
	.p2align	6, 0x0
	.amdhsa_kernel _ZL19rocblas_scal_kernelIlLi256EDF16_fDF16_PDF16_EviT3_lT4_lT_li
		.amdhsa_group_segment_fixed_size 0
		.amdhsa_private_segment_fixed_size 0
		.amdhsa_kernarg_size 52
		.amdhsa_user_sgpr_count 2
		.amdhsa_user_sgpr_dispatch_ptr 0
		.amdhsa_user_sgpr_queue_ptr 0
		.amdhsa_user_sgpr_kernarg_segment_ptr 1
		.amdhsa_user_sgpr_dispatch_id 0
		.amdhsa_user_sgpr_kernarg_preload_length 0
		.amdhsa_user_sgpr_kernarg_preload_offset 0
		.amdhsa_user_sgpr_private_segment_size 0
		.amdhsa_wavefront_size32 1
		.amdhsa_uses_dynamic_stack 0
		.amdhsa_enable_private_segment 0
		.amdhsa_system_sgpr_workgroup_id_x 1
		.amdhsa_system_sgpr_workgroup_id_y 0
		.amdhsa_system_sgpr_workgroup_id_z 1
		.amdhsa_system_sgpr_workgroup_info 0
		.amdhsa_system_vgpr_workitem_id 0
		.amdhsa_next_free_vgpr 5
		.amdhsa_next_free_sgpr 16
		.amdhsa_named_barrier_count 0
		.amdhsa_reserve_vcc 1
		.amdhsa_float_round_mode_32 0
		.amdhsa_float_round_mode_16_64 0
		.amdhsa_float_denorm_mode_32 3
		.amdhsa_float_denorm_mode_16_64 3
		.amdhsa_fp16_overflow 0
		.amdhsa_memory_ordered 1
		.amdhsa_forward_progress 1
		.amdhsa_inst_pref_size 3
		.amdhsa_round_robin_scheduling 0
		.amdhsa_exception_fp_ieee_invalid_op 0
		.amdhsa_exception_fp_denorm_src 0
		.amdhsa_exception_fp_ieee_div_zero 0
		.amdhsa_exception_fp_ieee_overflow 0
		.amdhsa_exception_fp_ieee_underflow 0
		.amdhsa_exception_fp_ieee_inexact 0
		.amdhsa_exception_int_div_zero 0
	.end_amdhsa_kernel
	.section	.text._ZL19rocblas_scal_kernelIlLi256EDF16_fDF16_PDF16_EviT3_lT4_lT_li,"axG",@progbits,_ZL19rocblas_scal_kernelIlLi256EDF16_fDF16_PDF16_EviT3_lT4_lT_li,comdat
.Lfunc_end81:
	.size	_ZL19rocblas_scal_kernelIlLi256EDF16_fDF16_PDF16_EviT3_lT4_lT_li, .Lfunc_end81-_ZL19rocblas_scal_kernelIlLi256EDF16_fDF16_PDF16_EviT3_lT4_lT_li
                                        ; -- End function
	.set _ZL19rocblas_scal_kernelIlLi256EDF16_fDF16_PDF16_EviT3_lT4_lT_li.num_vgpr, 5
	.set _ZL19rocblas_scal_kernelIlLi256EDF16_fDF16_PDF16_EviT3_lT4_lT_li.num_agpr, 0
	.set _ZL19rocblas_scal_kernelIlLi256EDF16_fDF16_PDF16_EviT3_lT4_lT_li.numbered_sgpr, 16
	.set _ZL19rocblas_scal_kernelIlLi256EDF16_fDF16_PDF16_EviT3_lT4_lT_li.num_named_barrier, 0
	.set _ZL19rocblas_scal_kernelIlLi256EDF16_fDF16_PDF16_EviT3_lT4_lT_li.private_seg_size, 0
	.set _ZL19rocblas_scal_kernelIlLi256EDF16_fDF16_PDF16_EviT3_lT4_lT_li.uses_vcc, 1
	.set _ZL19rocblas_scal_kernelIlLi256EDF16_fDF16_PDF16_EviT3_lT4_lT_li.uses_flat_scratch, 0
	.set _ZL19rocblas_scal_kernelIlLi256EDF16_fDF16_PDF16_EviT3_lT4_lT_li.has_dyn_sized_stack, 0
	.set _ZL19rocblas_scal_kernelIlLi256EDF16_fDF16_PDF16_EviT3_lT4_lT_li.has_recursion, 0
	.set _ZL19rocblas_scal_kernelIlLi256EDF16_fDF16_PDF16_EviT3_lT4_lT_li.has_indirect_call, 0
	.section	.AMDGPU.csdata,"",@progbits
; Kernel info:
; codeLenInByte = 280
; TotalNumSgprs: 18
; NumVgprs: 5
; ScratchSize: 0
; MemoryBound: 0
; FloatMode: 240
; IeeeMode: 1
; LDSByteSize: 0 bytes/workgroup (compile time only)
; SGPRBlocks: 0
; VGPRBlocks: 0
; NumSGPRsForWavesPerEU: 18
; NumVGPRsForWavesPerEU: 5
; NamedBarCnt: 0
; Occupancy: 16
; WaveLimiterHint : 0
; COMPUTE_PGM_RSRC2:SCRATCH_EN: 0
; COMPUTE_PGM_RSRC2:USER_SGPR: 2
; COMPUTE_PGM_RSRC2:TRAP_HANDLER: 0
; COMPUTE_PGM_RSRC2:TGID_X_EN: 1
; COMPUTE_PGM_RSRC2:TGID_Y_EN: 0
; COMPUTE_PGM_RSRC2:TGID_Z_EN: 1
; COMPUTE_PGM_RSRC2:TIDIG_COMP_CNT: 0
	.section	.text._ZL22rocblas_sscal_2_kernelILi256EDF16_fPKfPDF16_EviT2_lT3_lli,"axG",@progbits,_ZL22rocblas_sscal_2_kernelILi256EDF16_fPKfPDF16_EviT2_lT3_lli,comdat
	.globl	_ZL22rocblas_sscal_2_kernelILi256EDF16_fPKfPDF16_EviT2_lT3_lli ; -- Begin function _ZL22rocblas_sscal_2_kernelILi256EDF16_fPKfPDF16_EviT2_lT3_lli
	.p2align	8
	.type	_ZL22rocblas_sscal_2_kernelILi256EDF16_fPKfPDF16_EviT2_lT3_lli,@function
_ZL22rocblas_sscal_2_kernelILi256EDF16_fPKfPDF16_EviT2_lT3_lli: ; @_ZL22rocblas_sscal_2_kernelILi256EDF16_fPKfPDF16_EviT2_lT3_lli
; %bb.0:
	s_load_b32 s12, s[0:1], 0x30
	s_bfe_u32 s2, ttmp6, 0x40014
	s_lshr_b32 s3, ttmp7, 16
	s_add_co_i32 s2, s2, 1
	s_bfe_u32 s4, ttmp6, 0x40008
	s_mul_i32 s2, s3, s2
	s_getreg_b32 s13, hwreg(HW_REG_IB_STS2, 6, 4)
	s_add_co_i32 s4, s4, s2
	s_cmp_eq_u32 s13, 0
	s_cselect_b32 s2, s3, s4
	s_mov_b32 s3, 0
	s_wait_kmcnt 0x0
	s_cmp_ge_u32 s2, s12
	s_cbranch_scc1 .LBB82_9
; %bb.1:
	s_clause 0x2
	s_load_b128 s[4:7], s[0:1], 0x20
	s_load_b32 s16, s[0:1], 0x0
	s_load_b64 s[14:15], s[0:1], 0x18
	s_bfe_u32 s17, ttmp6, 0x4000c
	s_load_b128 s[8:11], s[0:1], 0x8
	s_add_co_i32 s17, s17, 1
	s_wait_xcnt 0x0
	s_and_b32 s0, ttmp6, 15
	s_mul_i32 s1, ttmp9, s17
	v_lshlrev_b32_e32 v0, 1, v0
	s_add_co_i32 s0, s0, s1
	s_wait_kmcnt 0x0
	s_lshl_b64 s[4:5], s[4:5], 1
	s_cmp_eq_u32 s13, 0
	s_add_nc_u64 s[4:5], s[14:15], s[4:5]
	s_cselect_b32 s0, ttmp9, s0
	s_bitcmp1_b32 s16, 0
	v_lshl_or_b32 v0, s0, 9, v0
	s_cselect_b32 s1, -1, 0
	s_add_co_i32 s0, s16, -1
	s_delay_alu instid0(VALU_DEP_1) | instskip(SKIP_1) | instid1(VALU_DEP_2)
	v_or_b32_e32 v1, 1, v0
	v_cmp_eq_u32_e64 s0, s0, v0
	v_cmp_gt_u32_e32 vcc_lo, s16, v1
	v_mov_b32_e32 v1, 0
	s_and_b32 s1, s1, s0
	s_branch .LBB82_4
.LBB82_2:                               ;   in Loop: Header=BB82_4 Depth=1
	s_wait_xcnt 0x0
	s_or_b32 exec_lo, exec_lo, s13
.LBB82_3:                               ;   in Loop: Header=BB82_4 Depth=1
	s_add_co_i32 s2, s2, 0x10000
	s_delay_alu instid0(SALU_CYCLE_1)
	s_cmp_lt_u32 s2, s12
	s_cbranch_scc0 .LBB82_9
.LBB82_4:                               ; =>This Inner Loop Header: Depth=1
	s_wait_xcnt 0x0
	s_mul_u64 s[14:15], s[10:11], s[2:3]
	s_delay_alu instid0(SALU_CYCLE_1) | instskip(NEXT) | instid1(SALU_CYCLE_1)
	s_lshl_b64 s[14:15], s[14:15], 2
	s_add_nc_u64 s[14:15], s[8:9], s[14:15]
	s_load_b32 s0, s[14:15], 0x0
	s_wait_kmcnt 0x0
	s_cmp_eq_f32 s0, 1.0
	s_cbranch_scc1 .LBB82_3
; %bb.5:                                ;   in Loop: Header=BB82_4 Depth=1
	s_wait_xcnt 0x0
	s_mul_u64 s[14:15], s[6:7], s[2:3]
	s_delay_alu instid0(SALU_CYCLE_1) | instskip(NEXT) | instid1(SALU_CYCLE_1)
	s_lshl_b64 s[14:15], s[14:15], 1
	s_add_nc_u64 s[14:15], s[4:5], s[14:15]
	s_delay_alu instid0(SALU_CYCLE_1)
	v_lshl_add_u64 v[2:3], v[0:1], 1, s[14:15]
	s_and_saveexec_b32 s13, vcc_lo
	s_cbranch_execz .LBB82_7
; %bb.6:                                ;   in Loop: Header=BB82_4 Depth=1
	global_load_b32 v4, v[2:3], off
	s_wait_loadcnt 0x0
	v_lshrrev_b32_e32 v5, 16, v4
	v_cvt_f32_f16_e32 v4, v4
	s_delay_alu instid0(VALU_DEP_2) | instskip(NEXT) | instid1(VALU_DEP_1)
	v_cvt_f32_f16_e32 v5, v5
	v_pk_mul_f32 v[4:5], s[0:1], v[4:5] op_sel_hi:[0,1]
	s_delay_alu instid0(VALU_DEP_1)
	v_cvt_pk_f16_f32 v4, v4, v5
	global_store_b32 v[2:3], v4, off
.LBB82_7:                               ;   in Loop: Header=BB82_4 Depth=1
	s_wait_xcnt 0x0
	s_or_b32 exec_lo, exec_lo, s13
	s_and_saveexec_b32 s13, s1
	s_cbranch_execz .LBB82_2
; %bb.8:                                ;   in Loop: Header=BB82_4 Depth=1
	global_load_u16 v4, v[2:3], off
	s_wait_loadcnt 0x0
	v_fma_mixlo_f16 v4, s0, v4, 0 op_sel_hi:[0,1,0]
	global_store_b16 v[2:3], v4, off
	s_branch .LBB82_2
.LBB82_9:
	s_endpgm
	.section	.rodata,"a",@progbits
	.p2align	6, 0x0
	.amdhsa_kernel _ZL22rocblas_sscal_2_kernelILi256EDF16_fPKfPDF16_EviT2_lT3_lli
		.amdhsa_group_segment_fixed_size 0
		.amdhsa_private_segment_fixed_size 0
		.amdhsa_kernarg_size 52
		.amdhsa_user_sgpr_count 2
		.amdhsa_user_sgpr_dispatch_ptr 0
		.amdhsa_user_sgpr_queue_ptr 0
		.amdhsa_user_sgpr_kernarg_segment_ptr 1
		.amdhsa_user_sgpr_dispatch_id 0
		.amdhsa_user_sgpr_kernarg_preload_length 0
		.amdhsa_user_sgpr_kernarg_preload_offset 0
		.amdhsa_user_sgpr_private_segment_size 0
		.amdhsa_wavefront_size32 1
		.amdhsa_uses_dynamic_stack 0
		.amdhsa_enable_private_segment 0
		.amdhsa_system_sgpr_workgroup_id_x 1
		.amdhsa_system_sgpr_workgroup_id_y 0
		.amdhsa_system_sgpr_workgroup_id_z 1
		.amdhsa_system_sgpr_workgroup_info 0
		.amdhsa_system_vgpr_workitem_id 0
		.amdhsa_next_free_vgpr 6
		.amdhsa_next_free_sgpr 18
		.amdhsa_named_barrier_count 0
		.amdhsa_reserve_vcc 1
		.amdhsa_float_round_mode_32 0
		.amdhsa_float_round_mode_16_64 0
		.amdhsa_float_denorm_mode_32 3
		.amdhsa_float_denorm_mode_16_64 3
		.amdhsa_fp16_overflow 0
		.amdhsa_memory_ordered 1
		.amdhsa_forward_progress 1
		.amdhsa_inst_pref_size 4
		.amdhsa_round_robin_scheduling 0
		.amdhsa_exception_fp_ieee_invalid_op 0
		.amdhsa_exception_fp_denorm_src 0
		.amdhsa_exception_fp_ieee_div_zero 0
		.amdhsa_exception_fp_ieee_overflow 0
		.amdhsa_exception_fp_ieee_underflow 0
		.amdhsa_exception_fp_ieee_inexact 0
		.amdhsa_exception_int_div_zero 0
	.end_amdhsa_kernel
	.section	.text._ZL22rocblas_sscal_2_kernelILi256EDF16_fPKfPDF16_EviT2_lT3_lli,"axG",@progbits,_ZL22rocblas_sscal_2_kernelILi256EDF16_fPKfPDF16_EviT2_lT3_lli,comdat
.Lfunc_end82:
	.size	_ZL22rocblas_sscal_2_kernelILi256EDF16_fPKfPDF16_EviT2_lT3_lli, .Lfunc_end82-_ZL22rocblas_sscal_2_kernelILi256EDF16_fPKfPDF16_EviT2_lT3_lli
                                        ; -- End function
	.set _ZL22rocblas_sscal_2_kernelILi256EDF16_fPKfPDF16_EviT2_lT3_lli.num_vgpr, 6
	.set _ZL22rocblas_sscal_2_kernelILi256EDF16_fPKfPDF16_EviT2_lT3_lli.num_agpr, 0
	.set _ZL22rocblas_sscal_2_kernelILi256EDF16_fPKfPDF16_EviT2_lT3_lli.numbered_sgpr, 18
	.set _ZL22rocblas_sscal_2_kernelILi256EDF16_fPKfPDF16_EviT2_lT3_lli.num_named_barrier, 0
	.set _ZL22rocblas_sscal_2_kernelILi256EDF16_fPKfPDF16_EviT2_lT3_lli.private_seg_size, 0
	.set _ZL22rocblas_sscal_2_kernelILi256EDF16_fPKfPDF16_EviT2_lT3_lli.uses_vcc, 1
	.set _ZL22rocblas_sscal_2_kernelILi256EDF16_fPKfPDF16_EviT2_lT3_lli.uses_flat_scratch, 0
	.set _ZL22rocblas_sscal_2_kernelILi256EDF16_fPKfPDF16_EviT2_lT3_lli.has_dyn_sized_stack, 0
	.set _ZL22rocblas_sscal_2_kernelILi256EDF16_fPKfPDF16_EviT2_lT3_lli.has_recursion, 0
	.set _ZL22rocblas_sscal_2_kernelILi256EDF16_fPKfPDF16_EviT2_lT3_lli.has_indirect_call, 0
	.section	.AMDGPU.csdata,"",@progbits
; Kernel info:
; codeLenInByte = 440
; TotalNumSgprs: 20
; NumVgprs: 6
; ScratchSize: 0
; MemoryBound: 0
; FloatMode: 240
; IeeeMode: 1
; LDSByteSize: 0 bytes/workgroup (compile time only)
; SGPRBlocks: 0
; VGPRBlocks: 0
; NumSGPRsForWavesPerEU: 20
; NumVGPRsForWavesPerEU: 6
; NamedBarCnt: 0
; Occupancy: 16
; WaveLimiterHint : 0
; COMPUTE_PGM_RSRC2:SCRATCH_EN: 0
; COMPUTE_PGM_RSRC2:USER_SGPR: 2
; COMPUTE_PGM_RSRC2:TRAP_HANDLER: 0
; COMPUTE_PGM_RSRC2:TGID_X_EN: 1
; COMPUTE_PGM_RSRC2:TGID_Y_EN: 0
; COMPUTE_PGM_RSRC2:TGID_Z_EN: 1
; COMPUTE_PGM_RSRC2:TIDIG_COMP_CNT: 0
	.section	.text._ZL22rocblas_sscal_2_kernelILi256EDF16_ffPDF16_EviT2_lT3_lli,"axG",@progbits,_ZL22rocblas_sscal_2_kernelILi256EDF16_ffPDF16_EviT2_lT3_lli,comdat
	.globl	_ZL22rocblas_sscal_2_kernelILi256EDF16_ffPDF16_EviT2_lT3_lli ; -- Begin function _ZL22rocblas_sscal_2_kernelILi256EDF16_ffPDF16_EviT2_lT3_lli
	.p2align	8
	.type	_ZL22rocblas_sscal_2_kernelILi256EDF16_ffPDF16_EviT2_lT3_lli,@function
_ZL22rocblas_sscal_2_kernelILi256EDF16_ffPDF16_EviT2_lT3_lli: ; @_ZL22rocblas_sscal_2_kernelILi256EDF16_ffPDF16_EviT2_lT3_lli
; %bb.0:
	s_load_b32 s10, s[0:1], 0x28
	s_bfe_u32 s2, ttmp6, 0x40014
	s_lshr_b32 s3, ttmp7, 16
	s_add_co_i32 s2, s2, 1
	s_bfe_u32 s4, ttmp6, 0x40008
	s_mul_i32 s2, s3, s2
	s_getreg_b32 s11, hwreg(HW_REG_IB_STS2, 6, 4)
	s_add_co_i32 s4, s4, s2
	s_cmp_eq_u32 s11, 0
	s_cselect_b32 s2, s3, s4
	s_mov_b32 s3, 0
	s_wait_kmcnt 0x0
	s_cmp_ge_u32 s2, s10
	s_cbranch_scc1 .LBB83_9
; %bb.1:
	s_clause 0x1
	s_load_b128 s[4:7], s[0:1], 0x18
	s_load_b64 s[8:9], s[0:1], 0x0
	s_bfe_u32 s12, ttmp6, 0x4000c
	s_and_b32 s14, ttmp6, 15
	s_add_co_i32 s12, s12, 1
	v_dual_mov_b32 v1, 0 :: v_dual_lshlrev_b32 v0, 1, v0
	s_mul_i32 s15, ttmp9, s12
	s_load_b64 s[12:13], s[0:1], 0x10
	s_add_co_i32 s14, s14, s15
	s_wait_kmcnt 0x0
	s_lshl_b64 s[4:5], s[4:5], 1
	s_cmp_eq_u32 s11, 0
	s_cselect_b32 s0, ttmp9, s14
	s_cmp_neq_f32 s9, 1.0
	v_lshl_or_b32 v0, s0, 9, v0
	s_add_nc_u64 s[4:5], s[12:13], s[4:5]
	s_cselect_b32 s1, -1, 0
	s_bitcmp1_b32 s8, 0
	s_delay_alu instid0(VALU_DEP_1) | instskip(SKIP_2) | instid1(SALU_CYCLE_1)
	v_or_b32_e32 v2, 1, v0
	s_cselect_b32 s11, -1, 0
	s_add_co_i32 s0, s8, -1
	v_cmp_eq_u32_e32 vcc_lo, s0, v0
	s_delay_alu instid0(VALU_DEP_2)
	v_cmp_gt_u32_e64 s0, s8, v2
	s_mov_b32 s8, s9
	s_and_b32 s11, s11, vcc_lo
	s_branch .LBB83_4
.LBB83_2:                               ;   in Loop: Header=BB83_4 Depth=1
	s_wait_xcnt 0x0
	s_or_b32 exec_lo, exec_lo, s12
.LBB83_3:                               ;   in Loop: Header=BB83_4 Depth=1
	s_add_co_i32 s2, s2, 0x10000
	s_delay_alu instid0(SALU_CYCLE_1)
	s_cmp_lt_u32 s2, s10
	s_cbranch_scc0 .LBB83_9
.LBB83_4:                               ; =>This Inner Loop Header: Depth=1
	s_and_not1_b32 vcc_lo, exec_lo, s1
	s_cbranch_vccnz .LBB83_3
; %bb.5:                                ;   in Loop: Header=BB83_4 Depth=1
	s_mul_u64 s[12:13], s[6:7], s[2:3]
	s_delay_alu instid0(SALU_CYCLE_1) | instskip(NEXT) | instid1(SALU_CYCLE_1)
	s_lshl_b64 s[12:13], s[12:13], 1
	s_add_nc_u64 s[12:13], s[4:5], s[12:13]
	s_delay_alu instid0(SALU_CYCLE_1)
	v_lshl_add_u64 v[2:3], v[0:1], 1, s[12:13]
	s_and_saveexec_b32 s12, s0
	s_cbranch_execz .LBB83_7
; %bb.6:                                ;   in Loop: Header=BB83_4 Depth=1
	global_load_b32 v4, v[2:3], off
	v_mov_b64_e32 v[6:7], s[8:9]
	s_wait_loadcnt 0x0
	v_lshrrev_b32_e32 v5, 16, v4
	v_cvt_f32_f16_e32 v4, v4
	s_delay_alu instid0(VALU_DEP_2) | instskip(NEXT) | instid1(VALU_DEP_1)
	v_cvt_f32_f16_e32 v5, v5
	v_pk_mul_f32 v[4:5], v[6:7], v[4:5]
	s_delay_alu instid0(VALU_DEP_1)
	v_cvt_pk_f16_f32 v4, v4, v5
	global_store_b32 v[2:3], v4, off
.LBB83_7:                               ;   in Loop: Header=BB83_4 Depth=1
	s_wait_xcnt 0x0
	s_or_b32 exec_lo, exec_lo, s12
	s_and_saveexec_b32 s12, s11
	s_cbranch_execz .LBB83_2
; %bb.8:                                ;   in Loop: Header=BB83_4 Depth=1
	global_load_u16 v4, v[2:3], off
	s_wait_loadcnt 0x0
	v_fma_mixlo_f16 v4, s9, v4, 0 op_sel_hi:[0,1,0]
	global_store_b16 v[2:3], v4, off
	s_branch .LBB83_2
.LBB83_9:
	s_endpgm
	.section	.rodata,"a",@progbits
	.p2align	6, 0x0
	.amdhsa_kernel _ZL22rocblas_sscal_2_kernelILi256EDF16_ffPDF16_EviT2_lT3_lli
		.amdhsa_group_segment_fixed_size 0
		.amdhsa_private_segment_fixed_size 0
		.amdhsa_kernarg_size 44
		.amdhsa_user_sgpr_count 2
		.amdhsa_user_sgpr_dispatch_ptr 0
		.amdhsa_user_sgpr_queue_ptr 0
		.amdhsa_user_sgpr_kernarg_segment_ptr 1
		.amdhsa_user_sgpr_dispatch_id 0
		.amdhsa_user_sgpr_kernarg_preload_length 0
		.amdhsa_user_sgpr_kernarg_preload_offset 0
		.amdhsa_user_sgpr_private_segment_size 0
		.amdhsa_wavefront_size32 1
		.amdhsa_uses_dynamic_stack 0
		.amdhsa_enable_private_segment 0
		.amdhsa_system_sgpr_workgroup_id_x 1
		.amdhsa_system_sgpr_workgroup_id_y 0
		.amdhsa_system_sgpr_workgroup_id_z 1
		.amdhsa_system_sgpr_workgroup_info 0
		.amdhsa_system_vgpr_workitem_id 0
		.amdhsa_next_free_vgpr 8
		.amdhsa_next_free_sgpr 16
		.amdhsa_named_barrier_count 0
		.amdhsa_reserve_vcc 1
		.amdhsa_float_round_mode_32 0
		.amdhsa_float_round_mode_16_64 0
		.amdhsa_float_denorm_mode_32 3
		.amdhsa_float_denorm_mode_16_64 3
		.amdhsa_fp16_overflow 0
		.amdhsa_memory_ordered 1
		.amdhsa_forward_progress 1
		.amdhsa_inst_pref_size 4
		.amdhsa_round_robin_scheduling 0
		.amdhsa_exception_fp_ieee_invalid_op 0
		.amdhsa_exception_fp_denorm_src 0
		.amdhsa_exception_fp_ieee_div_zero 0
		.amdhsa_exception_fp_ieee_overflow 0
		.amdhsa_exception_fp_ieee_underflow 0
		.amdhsa_exception_fp_ieee_inexact 0
		.amdhsa_exception_int_div_zero 0
	.end_amdhsa_kernel
	.section	.text._ZL22rocblas_sscal_2_kernelILi256EDF16_ffPDF16_EviT2_lT3_lli,"axG",@progbits,_ZL22rocblas_sscal_2_kernelILi256EDF16_ffPDF16_EviT2_lT3_lli,comdat
.Lfunc_end83:
	.size	_ZL22rocblas_sscal_2_kernelILi256EDF16_ffPDF16_EviT2_lT3_lli, .Lfunc_end83-_ZL22rocblas_sscal_2_kernelILi256EDF16_ffPDF16_EviT2_lT3_lli
                                        ; -- End function
	.set _ZL22rocblas_sscal_2_kernelILi256EDF16_ffPDF16_EviT2_lT3_lli.num_vgpr, 8
	.set _ZL22rocblas_sscal_2_kernelILi256EDF16_ffPDF16_EviT2_lT3_lli.num_agpr, 0
	.set _ZL22rocblas_sscal_2_kernelILi256EDF16_ffPDF16_EviT2_lT3_lli.numbered_sgpr, 16
	.set _ZL22rocblas_sscal_2_kernelILi256EDF16_ffPDF16_EviT2_lT3_lli.num_named_barrier, 0
	.set _ZL22rocblas_sscal_2_kernelILi256EDF16_ffPDF16_EviT2_lT3_lli.private_seg_size, 0
	.set _ZL22rocblas_sscal_2_kernelILi256EDF16_ffPDF16_EviT2_lT3_lli.uses_vcc, 1
	.set _ZL22rocblas_sscal_2_kernelILi256EDF16_ffPDF16_EviT2_lT3_lli.uses_flat_scratch, 0
	.set _ZL22rocblas_sscal_2_kernelILi256EDF16_ffPDF16_EviT2_lT3_lli.has_dyn_sized_stack, 0
	.set _ZL22rocblas_sscal_2_kernelILi256EDF16_ffPDF16_EviT2_lT3_lli.has_recursion, 0
	.set _ZL22rocblas_sscal_2_kernelILi256EDF16_ffPDF16_EviT2_lT3_lli.has_indirect_call, 0
	.section	.AMDGPU.csdata,"",@progbits
; Kernel info:
; codeLenInByte = 412
; TotalNumSgprs: 18
; NumVgprs: 8
; ScratchSize: 0
; MemoryBound: 0
; FloatMode: 240
; IeeeMode: 1
; LDSByteSize: 0 bytes/workgroup (compile time only)
; SGPRBlocks: 0
; VGPRBlocks: 0
; NumSGPRsForWavesPerEU: 18
; NumVGPRsForWavesPerEU: 8
; NamedBarCnt: 0
; Occupancy: 16
; WaveLimiterHint : 0
; COMPUTE_PGM_RSRC2:SCRATCH_EN: 0
; COMPUTE_PGM_RSRC2:USER_SGPR: 2
; COMPUTE_PGM_RSRC2:TRAP_HANDLER: 0
; COMPUTE_PGM_RSRC2:TGID_X_EN: 1
; COMPUTE_PGM_RSRC2:TGID_Y_EN: 0
; COMPUTE_PGM_RSRC2:TGID_Z_EN: 1
; COMPUTE_PGM_RSRC2:TIDIG_COMP_CNT: 0
	.section	.text._ZL19rocblas_scal_kernelIiLi256EDF16_fPKfPDF16_EviT3_lT4_lT_li,"axG",@progbits,_ZL19rocblas_scal_kernelIiLi256EDF16_fPKfPDF16_EviT3_lT4_lT_li,comdat
	.globl	_ZL19rocblas_scal_kernelIiLi256EDF16_fPKfPDF16_EviT3_lT4_lT_li ; -- Begin function _ZL19rocblas_scal_kernelIiLi256EDF16_fPKfPDF16_EviT3_lT4_lT_li
	.p2align	8
	.type	_ZL19rocblas_scal_kernelIiLi256EDF16_fPKfPDF16_EviT3_lT4_lT_li,@function
_ZL19rocblas_scal_kernelIiLi256EDF16_fPKfPDF16_EviT3_lT4_lT_li: ; @_ZL19rocblas_scal_kernelIiLi256EDF16_fPKfPDF16_EviT3_lT4_lT_li
; %bb.0:
	s_load_b32 s14, s[0:1], 0x38
	s_bfe_u32 s2, ttmp6, 0x40014
	s_lshr_b32 s3, ttmp7, 16
	s_add_co_i32 s2, s2, 1
	s_bfe_u32 s4, ttmp6, 0x40008
	s_mul_i32 s2, s3, s2
	s_getreg_b32 s15, hwreg(HW_REG_IB_STS2, 6, 4)
	s_add_co_i32 s4, s4, s2
	s_cmp_eq_u32 s15, 0
	s_cselect_b32 s2, s3, s4
	s_mov_b32 s3, 0
	s_wait_kmcnt 0x0
	s_cmp_ge_u32 s2, s14
	s_cbranch_scc1 .LBB84_5
; %bb.1:
	s_clause 0x1
	s_load_b32 s16, s[0:1], 0x28
	s_load_b256 s[4:11], s[0:1], 0x8
	s_bfe_u32 s12, ttmp6, 0x4000c
	s_and_b32 s17, ttmp6, 15
	s_add_co_i32 s12, s12, 1
	v_mov_b32_e32 v1, 0
	s_mul_i32 s18, ttmp9, s12
	s_load_b64 s[12:13], s[0:1], 0x30
	s_add_co_i32 s18, s17, s18
	s_wait_kmcnt 0x0
	s_ashr_i32 s17, s16, 31
	s_lshl_b64 s[10:11], s[10:11], 1
	s_cmp_eq_u32 s15, 0
	s_cselect_b32 s15, ttmp9, s18
	s_delay_alu instid0(SALU_CYCLE_1) | instskip(SKIP_3) | instid1(VALU_DEP_1)
	v_lshl_or_b32 v0, s15, 8, v0
	s_load_b32 s15, s[0:1], 0x0
	s_wait_xcnt 0x0
	s_add_nc_u64 s[0:1], s[8:9], s[10:11]
	v_mul_u64_e32 v[2:3], s[16:17], v[0:1]
	s_wait_kmcnt 0x0
	v_cmp_gt_u32_e32 vcc_lo, s15, v0
	s_delay_alu instid0(VALU_DEP_2)
	v_lshl_add_u64 v[0:1], v[2:3], 1, s[0:1]
	s_branch .LBB84_3
.LBB84_2:                               ;   in Loop: Header=BB84_3 Depth=1
	s_wait_xcnt 0x0
	s_or_b32 exec_lo, exec_lo, s1
	s_add_co_i32 s2, s2, 0x10000
	s_delay_alu instid0(SALU_CYCLE_1)
	s_cmp_lt_u32 s2, s14
	s_cbranch_scc0 .LBB84_5
.LBB84_3:                               ; =>This Inner Loop Header: Depth=1
	s_mul_u64 s[0:1], s[6:7], s[2:3]
	s_delay_alu instid0(SALU_CYCLE_1) | instskip(NEXT) | instid1(SALU_CYCLE_1)
	s_lshl_b64 s[0:1], s[0:1], 2
	s_add_nc_u64 s[0:1], s[4:5], s[0:1]
	s_load_b32 s0, s[0:1], 0x0
	s_wait_kmcnt 0x0
	s_cmp_neq_f32 s0, 1.0
	s_wait_xcnt 0x0
	s_cselect_b32 s1, -1, 0
	s_delay_alu instid0(SALU_CYCLE_1) | instskip(NEXT) | instid1(SALU_CYCLE_1)
	s_and_b32 s8, vcc_lo, s1
	s_and_saveexec_b32 s1, s8
	s_cbranch_execz .LBB84_2
; %bb.4:                                ;   in Loop: Header=BB84_3 Depth=1
	s_mul_u64 s[8:9], s[12:13], s[2:3]
	s_delay_alu instid0(SALU_CYCLE_1)
	v_lshl_add_u64 v[2:3], s[8:9], 1, v[0:1]
	global_load_u16 v4, v[2:3], off
	s_wait_loadcnt 0x0
	v_fma_mixlo_f16 v4, s0, v4, 0 op_sel_hi:[0,1,0]
	global_store_b16 v[2:3], v4, off
	s_branch .LBB84_2
.LBB84_5:
	s_endpgm
	.section	.rodata,"a",@progbits
	.p2align	6, 0x0
	.amdhsa_kernel _ZL19rocblas_scal_kernelIiLi256EDF16_fPKfPDF16_EviT3_lT4_lT_li
		.amdhsa_group_segment_fixed_size 0
		.amdhsa_private_segment_fixed_size 0
		.amdhsa_kernarg_size 60
		.amdhsa_user_sgpr_count 2
		.amdhsa_user_sgpr_dispatch_ptr 0
		.amdhsa_user_sgpr_queue_ptr 0
		.amdhsa_user_sgpr_kernarg_segment_ptr 1
		.amdhsa_user_sgpr_dispatch_id 0
		.amdhsa_user_sgpr_kernarg_preload_length 0
		.amdhsa_user_sgpr_kernarg_preload_offset 0
		.amdhsa_user_sgpr_private_segment_size 0
		.amdhsa_wavefront_size32 1
		.amdhsa_uses_dynamic_stack 0
		.amdhsa_enable_private_segment 0
		.amdhsa_system_sgpr_workgroup_id_x 1
		.amdhsa_system_sgpr_workgroup_id_y 0
		.amdhsa_system_sgpr_workgroup_id_z 1
		.amdhsa_system_sgpr_workgroup_info 0
		.amdhsa_system_vgpr_workitem_id 0
		.amdhsa_next_free_vgpr 5
		.amdhsa_next_free_sgpr 19
		.amdhsa_named_barrier_count 0
		.amdhsa_reserve_vcc 1
		.amdhsa_float_round_mode_32 0
		.amdhsa_float_round_mode_16_64 0
		.amdhsa_float_denorm_mode_32 3
		.amdhsa_float_denorm_mode_16_64 3
		.amdhsa_fp16_overflow 0
		.amdhsa_memory_ordered 1
		.amdhsa_forward_progress 1
		.amdhsa_inst_pref_size 3
		.amdhsa_round_robin_scheduling 0
		.amdhsa_exception_fp_ieee_invalid_op 0
		.amdhsa_exception_fp_denorm_src 0
		.amdhsa_exception_fp_ieee_div_zero 0
		.amdhsa_exception_fp_ieee_overflow 0
		.amdhsa_exception_fp_ieee_underflow 0
		.amdhsa_exception_fp_ieee_inexact 0
		.amdhsa_exception_int_div_zero 0
	.end_amdhsa_kernel
	.section	.text._ZL19rocblas_scal_kernelIiLi256EDF16_fPKfPDF16_EviT3_lT4_lT_li,"axG",@progbits,_ZL19rocblas_scal_kernelIiLi256EDF16_fPKfPDF16_EviT3_lT4_lT_li,comdat
.Lfunc_end84:
	.size	_ZL19rocblas_scal_kernelIiLi256EDF16_fPKfPDF16_EviT3_lT4_lT_li, .Lfunc_end84-_ZL19rocblas_scal_kernelIiLi256EDF16_fPKfPDF16_EviT3_lT4_lT_li
                                        ; -- End function
	.set _ZL19rocblas_scal_kernelIiLi256EDF16_fPKfPDF16_EviT3_lT4_lT_li.num_vgpr, 5
	.set _ZL19rocblas_scal_kernelIiLi256EDF16_fPKfPDF16_EviT3_lT4_lT_li.num_agpr, 0
	.set _ZL19rocblas_scal_kernelIiLi256EDF16_fPKfPDF16_EviT3_lT4_lT_li.numbered_sgpr, 19
	.set _ZL19rocblas_scal_kernelIiLi256EDF16_fPKfPDF16_EviT3_lT4_lT_li.num_named_barrier, 0
	.set _ZL19rocblas_scal_kernelIiLi256EDF16_fPKfPDF16_EviT3_lT4_lT_li.private_seg_size, 0
	.set _ZL19rocblas_scal_kernelIiLi256EDF16_fPKfPDF16_EviT3_lT4_lT_li.uses_vcc, 1
	.set _ZL19rocblas_scal_kernelIiLi256EDF16_fPKfPDF16_EviT3_lT4_lT_li.uses_flat_scratch, 0
	.set _ZL19rocblas_scal_kernelIiLi256EDF16_fPKfPDF16_EviT3_lT4_lT_li.has_dyn_sized_stack, 0
	.set _ZL19rocblas_scal_kernelIiLi256EDF16_fPKfPDF16_EviT3_lT4_lT_li.has_recursion, 0
	.set _ZL19rocblas_scal_kernelIiLi256EDF16_fPKfPDF16_EviT3_lT4_lT_li.has_indirect_call, 0
	.section	.AMDGPU.csdata,"",@progbits
; Kernel info:
; codeLenInByte = 344
; TotalNumSgprs: 21
; NumVgprs: 5
; ScratchSize: 0
; MemoryBound: 0
; FloatMode: 240
; IeeeMode: 1
; LDSByteSize: 0 bytes/workgroup (compile time only)
; SGPRBlocks: 0
; VGPRBlocks: 0
; NumSGPRsForWavesPerEU: 21
; NumVGPRsForWavesPerEU: 5
; NamedBarCnt: 0
; Occupancy: 16
; WaveLimiterHint : 0
; COMPUTE_PGM_RSRC2:SCRATCH_EN: 0
; COMPUTE_PGM_RSRC2:USER_SGPR: 2
; COMPUTE_PGM_RSRC2:TRAP_HANDLER: 0
; COMPUTE_PGM_RSRC2:TGID_X_EN: 1
; COMPUTE_PGM_RSRC2:TGID_Y_EN: 0
; COMPUTE_PGM_RSRC2:TGID_Z_EN: 1
; COMPUTE_PGM_RSRC2:TIDIG_COMP_CNT: 0
	.section	.text._ZL19rocblas_scal_kernelIiLi256EDF16_ffPDF16_EviT3_lT4_lT_li,"axG",@progbits,_ZL19rocblas_scal_kernelIiLi256EDF16_ffPDF16_EviT3_lT4_lT_li,comdat
	.globl	_ZL19rocblas_scal_kernelIiLi256EDF16_ffPDF16_EviT3_lT4_lT_li ; -- Begin function _ZL19rocblas_scal_kernelIiLi256EDF16_ffPDF16_EviT3_lT4_lT_li
	.p2align	8
	.type	_ZL19rocblas_scal_kernelIiLi256EDF16_ffPDF16_EviT3_lT4_lT_li,@function
_ZL19rocblas_scal_kernelIiLi256EDF16_ffPDF16_EviT3_lT4_lT_li: ; @_ZL19rocblas_scal_kernelIiLi256EDF16_ffPDF16_EviT3_lT4_lT_li
; %bb.0:
	s_load_b32 s6, s[0:1], 0x30
	s_bfe_u32 s2, ttmp6, 0x40014
	s_lshr_b32 s3, ttmp7, 16
	s_add_co_i32 s2, s2, 1
	s_bfe_u32 s4, ttmp6, 0x40008
	s_mul_i32 s2, s3, s2
	s_getreg_b32 s7, hwreg(HW_REG_IB_STS2, 6, 4)
	s_add_co_i32 s4, s4, s2
	s_cmp_eq_u32 s7, 0
	s_cselect_b32 s2, s3, s4
	s_mov_b32 s3, 0
	s_wait_kmcnt 0x0
	s_cmp_ge_u32 s2, s6
	s_cbranch_scc1 .LBB85_5
; %bb.1:
	s_clause 0x1
	s_load_b32 s12, s[0:1], 0x20
	s_load_b128 s[8:11], s[0:1], 0x10
	s_bfe_u32 s4, ttmp6, 0x4000c
	s_and_b32 s13, ttmp6, 15
	s_add_co_i32 s4, s4, 1
	v_mov_b32_e32 v1, 0
	s_mul_i32 s14, ttmp9, s4
	s_load_b64 s[4:5], s[0:1], 0x28
	s_add_co_i32 s14, s13, s14
	s_wait_xcnt 0x0
	s_load_b64 s[0:1], s[0:1], 0x0
	s_wait_kmcnt 0x0
	s_ashr_i32 s13, s12, 31
	s_lshl_b64 s[10:11], s[10:11], 1
	s_cmp_eq_u32 s7, 0
	s_add_nc_u64 s[8:9], s[8:9], s[10:11]
	s_cselect_b32 s7, ttmp9, s14
	s_delay_alu instid0(SALU_CYCLE_1) | instskip(SKIP_1) | instid1(VALU_DEP_1)
	v_lshl_or_b32 v0, s7, 8, v0
	s_cmp_neq_f32 s1, 1.0
	v_mul_u64_e32 v[2:3], s[12:13], v[0:1]
	v_cmp_gt_u32_e32 vcc_lo, s0, v0
	s_cselect_b32 s0, -1, 0
	s_delay_alu instid0(SALU_CYCLE_1) | instskip(NEXT) | instid1(VALU_DEP_2)
	s_and_b32 s0, vcc_lo, s0
	v_lshl_add_u64 v[0:1], v[2:3], 1, s[8:9]
	s_branch .LBB85_3
.LBB85_2:                               ;   in Loop: Header=BB85_3 Depth=1
	s_wait_xcnt 0x0
	s_or_b32 exec_lo, exec_lo, s7
	s_add_co_i32 s2, s2, 0x10000
	s_delay_alu instid0(SALU_CYCLE_1)
	s_cmp_lt_u32 s2, s6
	s_cbranch_scc0 .LBB85_5
.LBB85_3:                               ; =>This Inner Loop Header: Depth=1
	s_and_saveexec_b32 s7, s0
	s_cbranch_execz .LBB85_2
; %bb.4:                                ;   in Loop: Header=BB85_3 Depth=1
	s_mul_u64 s[8:9], s[4:5], s[2:3]
	s_delay_alu instid0(SALU_CYCLE_1)
	v_lshl_add_u64 v[2:3], s[8:9], 1, v[0:1]
	global_load_u16 v4, v[2:3], off
	s_wait_loadcnt 0x0
	v_fma_mixlo_f16 v4, s1, v4, 0 op_sel_hi:[0,1,0]
	global_store_b16 v[2:3], v4, off
	s_branch .LBB85_2
.LBB85_5:
	s_endpgm
	.section	.rodata,"a",@progbits
	.p2align	6, 0x0
	.amdhsa_kernel _ZL19rocblas_scal_kernelIiLi256EDF16_ffPDF16_EviT3_lT4_lT_li
		.amdhsa_group_segment_fixed_size 0
		.amdhsa_private_segment_fixed_size 0
		.amdhsa_kernarg_size 52
		.amdhsa_user_sgpr_count 2
		.amdhsa_user_sgpr_dispatch_ptr 0
		.amdhsa_user_sgpr_queue_ptr 0
		.amdhsa_user_sgpr_kernarg_segment_ptr 1
		.amdhsa_user_sgpr_dispatch_id 0
		.amdhsa_user_sgpr_kernarg_preload_length 0
		.amdhsa_user_sgpr_kernarg_preload_offset 0
		.amdhsa_user_sgpr_private_segment_size 0
		.amdhsa_wavefront_size32 1
		.amdhsa_uses_dynamic_stack 0
		.amdhsa_enable_private_segment 0
		.amdhsa_system_sgpr_workgroup_id_x 1
		.amdhsa_system_sgpr_workgroup_id_y 0
		.amdhsa_system_sgpr_workgroup_id_z 1
		.amdhsa_system_sgpr_workgroup_info 0
		.amdhsa_system_vgpr_workitem_id 0
		.amdhsa_next_free_vgpr 5
		.amdhsa_next_free_sgpr 15
		.amdhsa_named_barrier_count 0
		.amdhsa_reserve_vcc 1
		.amdhsa_float_round_mode_32 0
		.amdhsa_float_round_mode_16_64 0
		.amdhsa_float_denorm_mode_32 3
		.amdhsa_float_denorm_mode_16_64 3
		.amdhsa_fp16_overflow 0
		.amdhsa_memory_ordered 1
		.amdhsa_forward_progress 1
		.amdhsa_inst_pref_size 3
		.amdhsa_round_robin_scheduling 0
		.amdhsa_exception_fp_ieee_invalid_op 0
		.amdhsa_exception_fp_denorm_src 0
		.amdhsa_exception_fp_ieee_div_zero 0
		.amdhsa_exception_fp_ieee_overflow 0
		.amdhsa_exception_fp_ieee_underflow 0
		.amdhsa_exception_fp_ieee_inexact 0
		.amdhsa_exception_int_div_zero 0
	.end_amdhsa_kernel
	.section	.text._ZL19rocblas_scal_kernelIiLi256EDF16_ffPDF16_EviT3_lT4_lT_li,"axG",@progbits,_ZL19rocblas_scal_kernelIiLi256EDF16_ffPDF16_EviT3_lT4_lT_li,comdat
.Lfunc_end85:
	.size	_ZL19rocblas_scal_kernelIiLi256EDF16_ffPDF16_EviT3_lT4_lT_li, .Lfunc_end85-_ZL19rocblas_scal_kernelIiLi256EDF16_ffPDF16_EviT3_lT4_lT_li
                                        ; -- End function
	.set _ZL19rocblas_scal_kernelIiLi256EDF16_ffPDF16_EviT3_lT4_lT_li.num_vgpr, 5
	.set _ZL19rocblas_scal_kernelIiLi256EDF16_ffPDF16_EviT3_lT4_lT_li.num_agpr, 0
	.set _ZL19rocblas_scal_kernelIiLi256EDF16_ffPDF16_EviT3_lT4_lT_li.numbered_sgpr, 15
	.set _ZL19rocblas_scal_kernelIiLi256EDF16_ffPDF16_EviT3_lT4_lT_li.num_named_barrier, 0
	.set _ZL19rocblas_scal_kernelIiLi256EDF16_ffPDF16_EviT3_lT4_lT_li.private_seg_size, 0
	.set _ZL19rocblas_scal_kernelIiLi256EDF16_ffPDF16_EviT3_lT4_lT_li.uses_vcc, 1
	.set _ZL19rocblas_scal_kernelIiLi256EDF16_ffPDF16_EviT3_lT4_lT_li.uses_flat_scratch, 0
	.set _ZL19rocblas_scal_kernelIiLi256EDF16_ffPDF16_EviT3_lT4_lT_li.has_dyn_sized_stack, 0
	.set _ZL19rocblas_scal_kernelIiLi256EDF16_ffPDF16_EviT3_lT4_lT_li.has_recursion, 0
	.set _ZL19rocblas_scal_kernelIiLi256EDF16_ffPDF16_EviT3_lT4_lT_li.has_indirect_call, 0
	.section	.AMDGPU.csdata,"",@progbits
; Kernel info:
; codeLenInByte = 304
; TotalNumSgprs: 17
; NumVgprs: 5
; ScratchSize: 0
; MemoryBound: 0
; FloatMode: 240
; IeeeMode: 1
; LDSByteSize: 0 bytes/workgroup (compile time only)
; SGPRBlocks: 0
; VGPRBlocks: 0
; NumSGPRsForWavesPerEU: 17
; NumVGPRsForWavesPerEU: 5
; NamedBarCnt: 0
; Occupancy: 16
; WaveLimiterHint : 0
; COMPUTE_PGM_RSRC2:SCRATCH_EN: 0
; COMPUTE_PGM_RSRC2:USER_SGPR: 2
; COMPUTE_PGM_RSRC2:TRAP_HANDLER: 0
; COMPUTE_PGM_RSRC2:TGID_X_EN: 1
; COMPUTE_PGM_RSRC2:TGID_Y_EN: 0
; COMPUTE_PGM_RSRC2:TGID_Z_EN: 1
; COMPUTE_PGM_RSRC2:TIDIG_COMP_CNT: 0
	.section	.text._ZL19rocblas_scal_kernelIlLi256EDF16_fPKfPDF16_EviT3_lT4_lT_li,"axG",@progbits,_ZL19rocblas_scal_kernelIlLi256EDF16_fPKfPDF16_EviT3_lT4_lT_li,comdat
	.globl	_ZL19rocblas_scal_kernelIlLi256EDF16_fPKfPDF16_EviT3_lT4_lT_li ; -- Begin function _ZL19rocblas_scal_kernelIlLi256EDF16_fPKfPDF16_EviT3_lT4_lT_li
	.p2align	8
	.type	_ZL19rocblas_scal_kernelIlLi256EDF16_fPKfPDF16_EviT3_lT4_lT_li,@function
_ZL19rocblas_scal_kernelIlLi256EDF16_fPKfPDF16_EviT3_lT4_lT_li: ; @_ZL19rocblas_scal_kernelIlLi256EDF16_fPKfPDF16_EviT3_lT4_lT_li
; %bb.0:
	s_load_b32 s16, s[0:1], 0x38
	s_bfe_u32 s2, ttmp6, 0x40014
	s_lshr_b32 s3, ttmp7, 16
	s_add_co_i32 s2, s2, 1
	s_bfe_u32 s4, ttmp6, 0x40008
	s_mul_i32 s2, s3, s2
	s_getreg_b32 s17, hwreg(HW_REG_IB_STS2, 6, 4)
	s_add_co_i32 s4, s4, s2
	s_cmp_eq_u32 s17, 0
	s_cselect_b32 s2, s3, s4
	s_mov_b32 s3, 0
	s_wait_kmcnt 0x0
	s_cmp_ge_u32 s2, s16
	s_cbranch_scc1 .LBB86_5
; %bb.1:
	s_clause 0x1
	s_load_b256 s[4:11], s[0:1], 0x8
	s_load_b128 s[12:15], s[0:1], 0x28
	s_bfe_u32 s18, ttmp6, 0x4000c
	s_and_b32 s19, ttmp6, 15
	s_add_co_i32 s18, s18, 1
	v_mov_b32_e32 v1, 0
	s_mul_i32 s18, ttmp9, s18
	s_delay_alu instid0(SALU_CYCLE_1) | instskip(SKIP_4) | instid1(SALU_CYCLE_1)
	s_add_co_i32 s19, s19, s18
	s_wait_kmcnt 0x0
	s_lshl_b64 s[10:11], s[10:11], 1
	s_cmp_eq_u32 s17, 0
	s_cselect_b32 s17, ttmp9, s19
	v_lshl_or_b32 v0, s17, 8, v0
	s_delay_alu instid0(VALU_DEP_1)
	v_mul_u64_e32 v[2:3], s[12:13], v[0:1]
	s_load_b32 s12, s[0:1], 0x0
	s_wait_xcnt 0x0
	s_add_nc_u64 s[0:1], s[8:9], s[10:11]
	s_wait_kmcnt 0x0
	v_cmp_gt_u32_e32 vcc_lo, s12, v0
	s_delay_alu instid0(VALU_DEP_2)
	v_lshl_add_u64 v[0:1], v[2:3], 1, s[0:1]
	s_branch .LBB86_3
.LBB86_2:                               ;   in Loop: Header=BB86_3 Depth=1
	s_wait_xcnt 0x0
	s_or_b32 exec_lo, exec_lo, s1
	s_add_co_i32 s2, s2, 0x10000
	s_delay_alu instid0(SALU_CYCLE_1)
	s_cmp_lt_u32 s2, s16
	s_cbranch_scc0 .LBB86_5
.LBB86_3:                               ; =>This Inner Loop Header: Depth=1
	s_mul_u64 s[0:1], s[6:7], s[2:3]
	s_delay_alu instid0(SALU_CYCLE_1) | instskip(NEXT) | instid1(SALU_CYCLE_1)
	s_lshl_b64 s[0:1], s[0:1], 2
	s_add_nc_u64 s[0:1], s[4:5], s[0:1]
	s_load_b32 s0, s[0:1], 0x0
	s_wait_kmcnt 0x0
	s_cmp_neq_f32 s0, 1.0
	s_wait_xcnt 0x0
	s_cselect_b32 s1, -1, 0
	s_delay_alu instid0(SALU_CYCLE_1) | instskip(NEXT) | instid1(SALU_CYCLE_1)
	s_and_b32 s8, vcc_lo, s1
	s_and_saveexec_b32 s1, s8
	s_cbranch_execz .LBB86_2
; %bb.4:                                ;   in Loop: Header=BB86_3 Depth=1
	s_mul_u64 s[8:9], s[14:15], s[2:3]
	s_delay_alu instid0(SALU_CYCLE_1)
	v_lshl_add_u64 v[2:3], s[8:9], 1, v[0:1]
	global_load_u16 v4, v[2:3], off
	s_wait_loadcnt 0x0
	v_fma_mixlo_f16 v4, s0, v4, 0 op_sel_hi:[0,1,0]
	global_store_b16 v[2:3], v4, off
	s_branch .LBB86_2
.LBB86_5:
	s_endpgm
	.section	.rodata,"a",@progbits
	.p2align	6, 0x0
	.amdhsa_kernel _ZL19rocblas_scal_kernelIlLi256EDF16_fPKfPDF16_EviT3_lT4_lT_li
		.amdhsa_group_segment_fixed_size 0
		.amdhsa_private_segment_fixed_size 0
		.amdhsa_kernarg_size 60
		.amdhsa_user_sgpr_count 2
		.amdhsa_user_sgpr_dispatch_ptr 0
		.amdhsa_user_sgpr_queue_ptr 0
		.amdhsa_user_sgpr_kernarg_segment_ptr 1
		.amdhsa_user_sgpr_dispatch_id 0
		.amdhsa_user_sgpr_kernarg_preload_length 0
		.amdhsa_user_sgpr_kernarg_preload_offset 0
		.amdhsa_user_sgpr_private_segment_size 0
		.amdhsa_wavefront_size32 1
		.amdhsa_uses_dynamic_stack 0
		.amdhsa_enable_private_segment 0
		.amdhsa_system_sgpr_workgroup_id_x 1
		.amdhsa_system_sgpr_workgroup_id_y 0
		.amdhsa_system_sgpr_workgroup_id_z 1
		.amdhsa_system_sgpr_workgroup_info 0
		.amdhsa_system_vgpr_workitem_id 0
		.amdhsa_next_free_vgpr 5
		.amdhsa_next_free_sgpr 20
		.amdhsa_named_barrier_count 0
		.amdhsa_reserve_vcc 1
		.amdhsa_float_round_mode_32 0
		.amdhsa_float_round_mode_16_64 0
		.amdhsa_float_denorm_mode_32 3
		.amdhsa_float_denorm_mode_16_64 3
		.amdhsa_fp16_overflow 0
		.amdhsa_memory_ordered 1
		.amdhsa_forward_progress 1
		.amdhsa_inst_pref_size 3
		.amdhsa_round_robin_scheduling 0
		.amdhsa_exception_fp_ieee_invalid_op 0
		.amdhsa_exception_fp_denorm_src 0
		.amdhsa_exception_fp_ieee_div_zero 0
		.amdhsa_exception_fp_ieee_overflow 0
		.amdhsa_exception_fp_ieee_underflow 0
		.amdhsa_exception_fp_ieee_inexact 0
		.amdhsa_exception_int_div_zero 0
	.end_amdhsa_kernel
	.section	.text._ZL19rocblas_scal_kernelIlLi256EDF16_fPKfPDF16_EviT3_lT4_lT_li,"axG",@progbits,_ZL19rocblas_scal_kernelIlLi256EDF16_fPKfPDF16_EviT3_lT4_lT_li,comdat
.Lfunc_end86:
	.size	_ZL19rocblas_scal_kernelIlLi256EDF16_fPKfPDF16_EviT3_lT4_lT_li, .Lfunc_end86-_ZL19rocblas_scal_kernelIlLi256EDF16_fPKfPDF16_EviT3_lT4_lT_li
                                        ; -- End function
	.set _ZL19rocblas_scal_kernelIlLi256EDF16_fPKfPDF16_EviT3_lT4_lT_li.num_vgpr, 5
	.set _ZL19rocblas_scal_kernelIlLi256EDF16_fPKfPDF16_EviT3_lT4_lT_li.num_agpr, 0
	.set _ZL19rocblas_scal_kernelIlLi256EDF16_fPKfPDF16_EviT3_lT4_lT_li.numbered_sgpr, 20
	.set _ZL19rocblas_scal_kernelIlLi256EDF16_fPKfPDF16_EviT3_lT4_lT_li.num_named_barrier, 0
	.set _ZL19rocblas_scal_kernelIlLi256EDF16_fPKfPDF16_EviT3_lT4_lT_li.private_seg_size, 0
	.set _ZL19rocblas_scal_kernelIlLi256EDF16_fPKfPDF16_EviT3_lT4_lT_li.uses_vcc, 1
	.set _ZL19rocblas_scal_kernelIlLi256EDF16_fPKfPDF16_EviT3_lT4_lT_li.uses_flat_scratch, 0
	.set _ZL19rocblas_scal_kernelIlLi256EDF16_fPKfPDF16_EviT3_lT4_lT_li.has_dyn_sized_stack, 0
	.set _ZL19rocblas_scal_kernelIlLi256EDF16_fPKfPDF16_EviT3_lT4_lT_li.has_recursion, 0
	.set _ZL19rocblas_scal_kernelIlLi256EDF16_fPKfPDF16_EviT3_lT4_lT_li.has_indirect_call, 0
	.section	.AMDGPU.csdata,"",@progbits
; Kernel info:
; codeLenInByte = 336
; TotalNumSgprs: 22
; NumVgprs: 5
; ScratchSize: 0
; MemoryBound: 0
; FloatMode: 240
; IeeeMode: 1
; LDSByteSize: 0 bytes/workgroup (compile time only)
; SGPRBlocks: 0
; VGPRBlocks: 0
; NumSGPRsForWavesPerEU: 22
; NumVGPRsForWavesPerEU: 5
; NamedBarCnt: 0
; Occupancy: 16
; WaveLimiterHint : 0
; COMPUTE_PGM_RSRC2:SCRATCH_EN: 0
; COMPUTE_PGM_RSRC2:USER_SGPR: 2
; COMPUTE_PGM_RSRC2:TRAP_HANDLER: 0
; COMPUTE_PGM_RSRC2:TGID_X_EN: 1
; COMPUTE_PGM_RSRC2:TGID_Y_EN: 0
; COMPUTE_PGM_RSRC2:TGID_Z_EN: 1
; COMPUTE_PGM_RSRC2:TIDIG_COMP_CNT: 0
	.section	.text._ZL19rocblas_scal_kernelIlLi256EDF16_ffPDF16_EviT3_lT4_lT_li,"axG",@progbits,_ZL19rocblas_scal_kernelIlLi256EDF16_ffPDF16_EviT3_lT4_lT_li,comdat
	.globl	_ZL19rocblas_scal_kernelIlLi256EDF16_ffPDF16_EviT3_lT4_lT_li ; -- Begin function _ZL19rocblas_scal_kernelIlLi256EDF16_ffPDF16_EviT3_lT4_lT_li
	.p2align	8
	.type	_ZL19rocblas_scal_kernelIlLi256EDF16_ffPDF16_EviT3_lT4_lT_li,@function
_ZL19rocblas_scal_kernelIlLi256EDF16_ffPDF16_EviT3_lT4_lT_li: ; @_ZL19rocblas_scal_kernelIlLi256EDF16_ffPDF16_EviT3_lT4_lT_li
; %bb.0:
	s_load_b32 s12, s[0:1], 0x30
	s_bfe_u32 s2, ttmp6, 0x40014
	s_lshr_b32 s3, ttmp7, 16
	s_add_co_i32 s2, s2, 1
	s_bfe_u32 s4, ttmp6, 0x40008
	s_mul_i32 s2, s3, s2
	s_getreg_b32 s13, hwreg(HW_REG_IB_STS2, 6, 4)
	s_add_co_i32 s4, s4, s2
	s_cmp_eq_u32 s13, 0
	s_cselect_b32 s2, s3, s4
	s_mov_b32 s3, 0
	s_wait_kmcnt 0x0
	s_cmp_ge_u32 s2, s12
	s_cbranch_scc1 .LBB87_5
; %bb.1:
	s_load_b256 s[4:11], s[0:1], 0x10
	s_bfe_u32 s14, ttmp6, 0x4000c
	s_and_b32 s15, ttmp6, 15
	s_add_co_i32 s14, s14, 1
	v_mov_b32_e32 v1, 0
	s_mul_i32 s14, ttmp9, s14
	s_wait_xcnt 0x0
	s_load_b64 s[0:1], s[0:1], 0x0
	s_add_co_i32 s15, s15, s14
	s_wait_kmcnt 0x0
	s_lshl_b64 s[6:7], s[6:7], 1
	s_cmp_eq_u32 s13, 0
	s_add_nc_u64 s[4:5], s[4:5], s[6:7]
	s_cselect_b32 s13, ttmp9, s15
	s_delay_alu instid0(SALU_CYCLE_1) | instskip(SKIP_1) | instid1(VALU_DEP_1)
	v_lshl_or_b32 v0, s13, 8, v0
	s_cmp_neq_f32 s1, 1.0
	v_mul_u64_e32 v[2:3], s[8:9], v[0:1]
	v_cmp_gt_u32_e32 vcc_lo, s0, v0
	s_cselect_b32 s0, -1, 0
	s_delay_alu instid0(SALU_CYCLE_1) | instskip(NEXT) | instid1(VALU_DEP_2)
	s_and_b32 s0, vcc_lo, s0
	v_lshl_add_u64 v[0:1], v[2:3], 1, s[4:5]
	s_branch .LBB87_3
.LBB87_2:                               ;   in Loop: Header=BB87_3 Depth=1
	s_wait_xcnt 0x0
	s_or_b32 exec_lo, exec_lo, s4
	s_add_co_i32 s2, s2, 0x10000
	s_delay_alu instid0(SALU_CYCLE_1)
	s_cmp_lt_u32 s2, s12
	s_cbranch_scc0 .LBB87_5
.LBB87_3:                               ; =>This Inner Loop Header: Depth=1
	s_and_saveexec_b32 s4, s0
	s_cbranch_execz .LBB87_2
; %bb.4:                                ;   in Loop: Header=BB87_3 Depth=1
	s_mul_u64 s[6:7], s[10:11], s[2:3]
	s_delay_alu instid0(SALU_CYCLE_1)
	v_lshl_add_u64 v[2:3], s[6:7], 1, v[0:1]
	global_load_u16 v4, v[2:3], off
	s_wait_loadcnt 0x0
	v_fma_mixlo_f16 v4, s1, v4, 0 op_sel_hi:[0,1,0]
	global_store_b16 v[2:3], v4, off
	s_branch .LBB87_2
.LBB87_5:
	s_endpgm
	.section	.rodata,"a",@progbits
	.p2align	6, 0x0
	.amdhsa_kernel _ZL19rocblas_scal_kernelIlLi256EDF16_ffPDF16_EviT3_lT4_lT_li
		.amdhsa_group_segment_fixed_size 0
		.amdhsa_private_segment_fixed_size 0
		.amdhsa_kernarg_size 52
		.amdhsa_user_sgpr_count 2
		.amdhsa_user_sgpr_dispatch_ptr 0
		.amdhsa_user_sgpr_queue_ptr 0
		.amdhsa_user_sgpr_kernarg_segment_ptr 1
		.amdhsa_user_sgpr_dispatch_id 0
		.amdhsa_user_sgpr_kernarg_preload_length 0
		.amdhsa_user_sgpr_kernarg_preload_offset 0
		.amdhsa_user_sgpr_private_segment_size 0
		.amdhsa_wavefront_size32 1
		.amdhsa_uses_dynamic_stack 0
		.amdhsa_enable_private_segment 0
		.amdhsa_system_sgpr_workgroup_id_x 1
		.amdhsa_system_sgpr_workgroup_id_y 0
		.amdhsa_system_sgpr_workgroup_id_z 1
		.amdhsa_system_sgpr_workgroup_info 0
		.amdhsa_system_vgpr_workitem_id 0
		.amdhsa_next_free_vgpr 5
		.amdhsa_next_free_sgpr 16
		.amdhsa_named_barrier_count 0
		.amdhsa_reserve_vcc 1
		.amdhsa_float_round_mode_32 0
		.amdhsa_float_round_mode_16_64 0
		.amdhsa_float_denorm_mode_32 3
		.amdhsa_float_denorm_mode_16_64 3
		.amdhsa_fp16_overflow 0
		.amdhsa_memory_ordered 1
		.amdhsa_forward_progress 1
		.amdhsa_inst_pref_size 3
		.amdhsa_round_robin_scheduling 0
		.amdhsa_exception_fp_ieee_invalid_op 0
		.amdhsa_exception_fp_denorm_src 0
		.amdhsa_exception_fp_ieee_div_zero 0
		.amdhsa_exception_fp_ieee_overflow 0
		.amdhsa_exception_fp_ieee_underflow 0
		.amdhsa_exception_fp_ieee_inexact 0
		.amdhsa_exception_int_div_zero 0
	.end_amdhsa_kernel
	.section	.text._ZL19rocblas_scal_kernelIlLi256EDF16_ffPDF16_EviT3_lT4_lT_li,"axG",@progbits,_ZL19rocblas_scal_kernelIlLi256EDF16_ffPDF16_EviT3_lT4_lT_li,comdat
.Lfunc_end87:
	.size	_ZL19rocblas_scal_kernelIlLi256EDF16_ffPDF16_EviT3_lT4_lT_li, .Lfunc_end87-_ZL19rocblas_scal_kernelIlLi256EDF16_ffPDF16_EviT3_lT4_lT_li
                                        ; -- End function
	.set _ZL19rocblas_scal_kernelIlLi256EDF16_ffPDF16_EviT3_lT4_lT_li.num_vgpr, 5
	.set _ZL19rocblas_scal_kernelIlLi256EDF16_ffPDF16_EviT3_lT4_lT_li.num_agpr, 0
	.set _ZL19rocblas_scal_kernelIlLi256EDF16_ffPDF16_EviT3_lT4_lT_li.numbered_sgpr, 16
	.set _ZL19rocblas_scal_kernelIlLi256EDF16_ffPDF16_EviT3_lT4_lT_li.num_named_barrier, 0
	.set _ZL19rocblas_scal_kernelIlLi256EDF16_ffPDF16_EviT3_lT4_lT_li.private_seg_size, 0
	.set _ZL19rocblas_scal_kernelIlLi256EDF16_ffPDF16_EviT3_lT4_lT_li.uses_vcc, 1
	.set _ZL19rocblas_scal_kernelIlLi256EDF16_ffPDF16_EviT3_lT4_lT_li.uses_flat_scratch, 0
	.set _ZL19rocblas_scal_kernelIlLi256EDF16_ffPDF16_EviT3_lT4_lT_li.has_dyn_sized_stack, 0
	.set _ZL19rocblas_scal_kernelIlLi256EDF16_ffPDF16_EviT3_lT4_lT_li.has_recursion, 0
	.set _ZL19rocblas_scal_kernelIlLi256EDF16_ffPDF16_EviT3_lT4_lT_li.has_indirect_call, 0
	.section	.AMDGPU.csdata,"",@progbits
; Kernel info:
; codeLenInByte = 280
; TotalNumSgprs: 18
; NumVgprs: 5
; ScratchSize: 0
; MemoryBound: 0
; FloatMode: 240
; IeeeMode: 1
; LDSByteSize: 0 bytes/workgroup (compile time only)
; SGPRBlocks: 0
; VGPRBlocks: 0
; NumSGPRsForWavesPerEU: 18
; NumVGPRsForWavesPerEU: 5
; NamedBarCnt: 0
; Occupancy: 16
; WaveLimiterHint : 0
; COMPUTE_PGM_RSRC2:SCRATCH_EN: 0
; COMPUTE_PGM_RSRC2:USER_SGPR: 2
; COMPUTE_PGM_RSRC2:TRAP_HANDLER: 0
; COMPUTE_PGM_RSRC2:TGID_X_EN: 1
; COMPUTE_PGM_RSRC2:TGID_Y_EN: 0
; COMPUTE_PGM_RSRC2:TGID_Z_EN: 1
; COMPUTE_PGM_RSRC2:TIDIG_COMP_CNT: 0
	.section	.text._ZL22rocblas_sscal_2_kernelILi256E16rocblas_bfloat16fPKS0_PS0_EviT2_lT3_lli,"axG",@progbits,_ZL22rocblas_sscal_2_kernelILi256E16rocblas_bfloat16fPKS0_PS0_EviT2_lT3_lli,comdat
	.globl	_ZL22rocblas_sscal_2_kernelILi256E16rocblas_bfloat16fPKS0_PS0_EviT2_lT3_lli ; -- Begin function _ZL22rocblas_sscal_2_kernelILi256E16rocblas_bfloat16fPKS0_PS0_EviT2_lT3_lli
	.p2align	8
	.type	_ZL22rocblas_sscal_2_kernelILi256E16rocblas_bfloat16fPKS0_PS0_EviT2_lT3_lli,@function
_ZL22rocblas_sscal_2_kernelILi256E16rocblas_bfloat16fPKS0_PS0_EviT2_lT3_lli: ; @_ZL22rocblas_sscal_2_kernelILi256E16rocblas_bfloat16fPKS0_PS0_EviT2_lT3_lli
; %bb.0:
	s_load_b32 s12, s[0:1], 0x30
	s_bfe_u32 s2, ttmp6, 0x40014
	s_lshr_b32 s3, ttmp7, 16
	s_add_co_i32 s2, s2, 1
	s_bfe_u32 s4, ttmp6, 0x40008
	s_mul_i32 s2, s3, s2
	s_getreg_b32 s13, hwreg(HW_REG_IB_STS2, 6, 4)
	s_add_co_i32 s4, s4, s2
	s_cmp_eq_u32 s13, 0
	s_cselect_b32 s2, s3, s4
	s_mov_b32 s3, 0
	s_wait_kmcnt 0x0
	s_cmp_ge_u32 s2, s12
	s_cbranch_scc1 .LBB88_21
; %bb.1:
	s_clause 0x2
	s_load_b128 s[4:7], s[0:1], 0x20
	s_load_b32 s16, s[0:1], 0x0
	s_load_b64 s[14:15], s[0:1], 0x18
	s_bfe_u32 s17, ttmp6, 0x4000c
	s_load_b128 s[8:11], s[0:1], 0x8
	s_add_co_i32 s17, s17, 1
	s_wait_xcnt 0x0
	s_and_b32 s0, ttmp6, 15
	s_mul_i32 s1, ttmp9, s17
	v_lshlrev_b32_e32 v0, 1, v0
	s_add_co_i32 s0, s0, s1
	s_wait_kmcnt 0x0
	s_lshl_b64 s[4:5], s[4:5], 1
	s_cmp_eq_u32 s13, 0
	s_add_nc_u64 s[4:5], s[14:15], s[4:5]
	s_cselect_b32 s0, ttmp9, s0
	s_bitcmp1_b32 s16, 0
	v_lshl_or_b32 v0, s0, 9, v0
	s_cselect_b32 s1, -1, 0
	s_add_co_i32 s0, s16, -1
	s_delay_alu instid0(VALU_DEP_1) | instskip(SKIP_1) | instid1(VALU_DEP_2)
	v_or_b32_e32 v1, 1, v0
	v_cmp_eq_u32_e64 s0, s0, v0
	v_cmp_gt_u32_e32 vcc_lo, s16, v1
	v_mov_b32_e32 v1, 0
	s_and_b32 s1, s1, s0
	s_branch .LBB88_5
.LBB88_2:                               ;   in Loop: Header=BB88_5 Depth=1
	s_or_b32 exec_lo, exec_lo, s13
	global_store_d16_hi_b16 v[2:3], v5, off
.LBB88_3:                               ;   in Loop: Header=BB88_5 Depth=1
	s_wait_xcnt 0x0
	s_or_b32 exec_lo, exec_lo, s14
.LBB88_4:                               ;   in Loop: Header=BB88_5 Depth=1
	s_add_co_i32 s2, s2, 0x10000
	s_delay_alu instid0(SALU_CYCLE_1)
	s_cmp_lt_u32 s2, s12
	s_cbranch_scc0 .LBB88_21
.LBB88_5:                               ; =>This Inner Loop Header: Depth=1
	s_wait_xcnt 0x0
	s_mul_u64 s[14:15], s[10:11], s[2:3]
	s_delay_alu instid0(SALU_CYCLE_1) | instskip(NEXT) | instid1(SALU_CYCLE_1)
	s_lshl_b64 s[14:15], s[14:15], 1
	s_add_nc_u64 s[14:15], s[8:9], s[14:15]
	s_load_u16 s0, s[14:15], 0x0
	s_wait_kmcnt 0x0
	s_lshl_b32 s13, s0, 16
	s_delay_alu instid0(SALU_CYCLE_1)
	s_cmp_eq_f32 s13, 1.0
	s_cbranch_scc1 .LBB88_4
; %bb.6:                                ;   in Loop: Header=BB88_5 Depth=1
	s_wait_xcnt 0x0
	s_mul_u64 s[14:15], s[6:7], s[2:3]
	s_delay_alu instid0(SALU_CYCLE_1) | instskip(NEXT) | instid1(SALU_CYCLE_1)
	s_lshl_b64 s[14:15], s[14:15], 1
	s_add_nc_u64 s[14:15], s[4:5], s[14:15]
	s_delay_alu instid0(SALU_CYCLE_1)
	v_lshl_add_u64 v[2:3], v[0:1], 1, s[14:15]
	s_and_saveexec_b32 s14, vcc_lo
	s_cbranch_execz .LBB88_16
; %bb.7:                                ;   in Loop: Header=BB88_5 Depth=1
	global_load_u16 v4, v[2:3], off
	s_wait_loadcnt 0x0
	v_lshlrev_b32_e32 v4, 16, v4
	s_delay_alu instid0(VALU_DEP_1) | instskip(NEXT) | instid1(VALU_DEP_1)
	v_mul_f32_e32 v5, s13, v4
	v_and_b32_e32 v4, 0x7f800000, v5
	s_delay_alu instid0(VALU_DEP_1) | instskip(SKIP_2) | instid1(SALU_CYCLE_1)
	v_cmp_ne_u32_e64 s0, 0x7f800000, v4
                                        ; implicit-def: $vgpr4
	s_wait_xcnt 0x0
	s_and_saveexec_b32 s15, s0
	s_xor_b32 s0, exec_lo, s15
; %bb.8:                                ;   in Loop: Header=BB88_5 Depth=1
	v_bfe_u32 v4, v5, 16, 1
	s_delay_alu instid0(VALU_DEP_1)
	v_add3_u32 v4, v5, v4, 0x7fff
                                        ; implicit-def: $vgpr5
; %bb.9:                                ;   in Loop: Header=BB88_5 Depth=1
	s_and_not1_saveexec_b32 s15, s0
; %bb.10:                               ;   in Loop: Header=BB88_5 Depth=1
	v_and_b32_e32 v4, 0xffff, v5
	v_or_b32_e32 v6, 0x10000, v5
	s_delay_alu instid0(VALU_DEP_2) | instskip(NEXT) | instid1(VALU_DEP_1)
	v_cmp_eq_u32_e64 s0, 0, v4
	v_cndmask_b32_e64 v4, v6, v5, s0
; %bb.11:                               ;   in Loop: Header=BB88_5 Depth=1
	s_or_b32 exec_lo, exec_lo, s15
	s_clause 0x1
	global_load_u16 v5, v[2:3], off offset:2
	global_store_d16_hi_b16 v[2:3], v4, off
                                        ; implicit-def: $vgpr4
	s_wait_loadcnt 0x0
	v_lshlrev_b32_e32 v5, 16, v5
	s_delay_alu instid0(VALU_DEP_1) | instskip(NEXT) | instid1(VALU_DEP_1)
	v_mul_f32_e32 v5, s13, v5
	v_and_b32_e32 v6, 0x7f800000, v5
	s_delay_alu instid0(VALU_DEP_1) | instskip(SKIP_2) | instid1(SALU_CYCLE_1)
	v_cmp_ne_u32_e64 s0, 0x7f800000, v6
	s_wait_xcnt 0x0
	s_and_saveexec_b32 s15, s0
	s_xor_b32 s0, exec_lo, s15
; %bb.12:                               ;   in Loop: Header=BB88_5 Depth=1
	v_bfe_u32 v4, v5, 16, 1
	s_delay_alu instid0(VALU_DEP_1)
	v_add3_u32 v4, v5, v4, 0x7fff
                                        ; implicit-def: $vgpr5
; %bb.13:                               ;   in Loop: Header=BB88_5 Depth=1
	s_and_not1_saveexec_b32 s15, s0
; %bb.14:                               ;   in Loop: Header=BB88_5 Depth=1
	v_and_b32_e32 v4, 0xffff, v5
	v_or_b32_e32 v6, 0x10000, v5
	s_delay_alu instid0(VALU_DEP_2) | instskip(NEXT) | instid1(VALU_DEP_1)
	v_cmp_eq_u32_e64 s0, 0, v4
	v_cndmask_b32_e64 v4, v6, v5, s0
; %bb.15:                               ;   in Loop: Header=BB88_5 Depth=1
	s_or_b32 exec_lo, exec_lo, s15
	global_store_d16_hi_b16 v[2:3], v4, off offset:2
.LBB88_16:                              ;   in Loop: Header=BB88_5 Depth=1
	s_wait_xcnt 0x0
	s_or_b32 exec_lo, exec_lo, s14
	s_and_saveexec_b32 s14, s1
	s_cbranch_execz .LBB88_3
; %bb.17:                               ;   in Loop: Header=BB88_5 Depth=1
	global_load_u16 v4, v[2:3], off
	s_wait_loadcnt 0x0
	v_lshlrev_b32_e32 v4, 16, v4
	s_delay_alu instid0(VALU_DEP_1) | instskip(NEXT) | instid1(VALU_DEP_1)
	v_mul_f32_e32 v4, s13, v4
	v_and_b32_e32 v5, 0x7f800000, v4
	s_delay_alu instid0(VALU_DEP_1) | instskip(SKIP_2) | instid1(SALU_CYCLE_1)
	v_cmp_ne_u32_e64 s0, 0x7f800000, v5
                                        ; implicit-def: $vgpr5
	s_wait_xcnt 0x0
	s_and_saveexec_b32 s13, s0
	s_xor_b32 s0, exec_lo, s13
; %bb.18:                               ;   in Loop: Header=BB88_5 Depth=1
	v_bfe_u32 v5, v4, 16, 1
	s_delay_alu instid0(VALU_DEP_1)
	v_add3_u32 v5, v4, v5, 0x7fff
                                        ; implicit-def: $vgpr4
; %bb.19:                               ;   in Loop: Header=BB88_5 Depth=1
	s_and_not1_saveexec_b32 s13, s0
	s_cbranch_execz .LBB88_2
; %bb.20:                               ;   in Loop: Header=BB88_5 Depth=1
	v_and_b32_e32 v5, 0xffff, v4
	v_or_b32_e32 v6, 0x10000, v4
	s_delay_alu instid0(VALU_DEP_2) | instskip(NEXT) | instid1(VALU_DEP_1)
	v_cmp_eq_u32_e64 s0, 0, v5
	v_cndmask_b32_e64 v5, v6, v4, s0
	s_branch .LBB88_2
.LBB88_21:
	s_endpgm
	.section	.rodata,"a",@progbits
	.p2align	6, 0x0
	.amdhsa_kernel _ZL22rocblas_sscal_2_kernelILi256E16rocblas_bfloat16fPKS0_PS0_EviT2_lT3_lli
		.amdhsa_group_segment_fixed_size 0
		.amdhsa_private_segment_fixed_size 0
		.amdhsa_kernarg_size 52
		.amdhsa_user_sgpr_count 2
		.amdhsa_user_sgpr_dispatch_ptr 0
		.amdhsa_user_sgpr_queue_ptr 0
		.amdhsa_user_sgpr_kernarg_segment_ptr 1
		.amdhsa_user_sgpr_dispatch_id 0
		.amdhsa_user_sgpr_kernarg_preload_length 0
		.amdhsa_user_sgpr_kernarg_preload_offset 0
		.amdhsa_user_sgpr_private_segment_size 0
		.amdhsa_wavefront_size32 1
		.amdhsa_uses_dynamic_stack 0
		.amdhsa_enable_private_segment 0
		.amdhsa_system_sgpr_workgroup_id_x 1
		.amdhsa_system_sgpr_workgroup_id_y 0
		.amdhsa_system_sgpr_workgroup_id_z 1
		.amdhsa_system_sgpr_workgroup_info 0
		.amdhsa_system_vgpr_workitem_id 0
		.amdhsa_next_free_vgpr 7
		.amdhsa_next_free_sgpr 18
		.amdhsa_named_barrier_count 0
		.amdhsa_reserve_vcc 1
		.amdhsa_float_round_mode_32 0
		.amdhsa_float_round_mode_16_64 0
		.amdhsa_float_denorm_mode_32 3
		.amdhsa_float_denorm_mode_16_64 3
		.amdhsa_fp16_overflow 0
		.amdhsa_memory_ordered 1
		.amdhsa_forward_progress 1
		.amdhsa_inst_pref_size 7
		.amdhsa_round_robin_scheduling 0
		.amdhsa_exception_fp_ieee_invalid_op 0
		.amdhsa_exception_fp_denorm_src 0
		.amdhsa_exception_fp_ieee_div_zero 0
		.amdhsa_exception_fp_ieee_overflow 0
		.amdhsa_exception_fp_ieee_underflow 0
		.amdhsa_exception_fp_ieee_inexact 0
		.amdhsa_exception_int_div_zero 0
	.end_amdhsa_kernel
	.section	.text._ZL22rocblas_sscal_2_kernelILi256E16rocblas_bfloat16fPKS0_PS0_EviT2_lT3_lli,"axG",@progbits,_ZL22rocblas_sscal_2_kernelILi256E16rocblas_bfloat16fPKS0_PS0_EviT2_lT3_lli,comdat
.Lfunc_end88:
	.size	_ZL22rocblas_sscal_2_kernelILi256E16rocblas_bfloat16fPKS0_PS0_EviT2_lT3_lli, .Lfunc_end88-_ZL22rocblas_sscal_2_kernelILi256E16rocblas_bfloat16fPKS0_PS0_EviT2_lT3_lli
                                        ; -- End function
	.set _ZL22rocblas_sscal_2_kernelILi256E16rocblas_bfloat16fPKS0_PS0_EviT2_lT3_lli.num_vgpr, 7
	.set _ZL22rocblas_sscal_2_kernelILi256E16rocblas_bfloat16fPKS0_PS0_EviT2_lT3_lli.num_agpr, 0
	.set _ZL22rocblas_sscal_2_kernelILi256E16rocblas_bfloat16fPKS0_PS0_EviT2_lT3_lli.numbered_sgpr, 18
	.set _ZL22rocblas_sscal_2_kernelILi256E16rocblas_bfloat16fPKS0_PS0_EviT2_lT3_lli.num_named_barrier, 0
	.set _ZL22rocblas_sscal_2_kernelILi256E16rocblas_bfloat16fPKS0_PS0_EviT2_lT3_lli.private_seg_size, 0
	.set _ZL22rocblas_sscal_2_kernelILi256E16rocblas_bfloat16fPKS0_PS0_EviT2_lT3_lli.uses_vcc, 1
	.set _ZL22rocblas_sscal_2_kernelILi256E16rocblas_bfloat16fPKS0_PS0_EviT2_lT3_lli.uses_flat_scratch, 0
	.set _ZL22rocblas_sscal_2_kernelILi256E16rocblas_bfloat16fPKS0_PS0_EviT2_lT3_lli.has_dyn_sized_stack, 0
	.set _ZL22rocblas_sscal_2_kernelILi256E16rocblas_bfloat16fPKS0_PS0_EviT2_lT3_lli.has_recursion, 0
	.set _ZL22rocblas_sscal_2_kernelILi256E16rocblas_bfloat16fPKS0_PS0_EviT2_lT3_lli.has_indirect_call, 0
	.section	.AMDGPU.csdata,"",@progbits
; Kernel info:
; codeLenInByte = 788
; TotalNumSgprs: 20
; NumVgprs: 7
; ScratchSize: 0
; MemoryBound: 0
; FloatMode: 240
; IeeeMode: 1
; LDSByteSize: 0 bytes/workgroup (compile time only)
; SGPRBlocks: 0
; VGPRBlocks: 0
; NumSGPRsForWavesPerEU: 20
; NumVGPRsForWavesPerEU: 7
; NamedBarCnt: 0
; Occupancy: 16
; WaveLimiterHint : 0
; COMPUTE_PGM_RSRC2:SCRATCH_EN: 0
; COMPUTE_PGM_RSRC2:USER_SGPR: 2
; COMPUTE_PGM_RSRC2:TRAP_HANDLER: 0
; COMPUTE_PGM_RSRC2:TGID_X_EN: 1
; COMPUTE_PGM_RSRC2:TGID_Y_EN: 0
; COMPUTE_PGM_RSRC2:TGID_Z_EN: 1
; COMPUTE_PGM_RSRC2:TIDIG_COMP_CNT: 0
	.section	.text._ZL22rocblas_sscal_2_kernelILi256E16rocblas_bfloat16fS0_PS0_EviT2_lT3_lli,"axG",@progbits,_ZL22rocblas_sscal_2_kernelILi256E16rocblas_bfloat16fS0_PS0_EviT2_lT3_lli,comdat
	.globl	_ZL22rocblas_sscal_2_kernelILi256E16rocblas_bfloat16fS0_PS0_EviT2_lT3_lli ; -- Begin function _ZL22rocblas_sscal_2_kernelILi256E16rocblas_bfloat16fS0_PS0_EviT2_lT3_lli
	.p2align	8
	.type	_ZL22rocblas_sscal_2_kernelILi256E16rocblas_bfloat16fS0_PS0_EviT2_lT3_lli,@function
_ZL22rocblas_sscal_2_kernelILi256E16rocblas_bfloat16fS0_PS0_EviT2_lT3_lli: ; @_ZL22rocblas_sscal_2_kernelILi256E16rocblas_bfloat16fS0_PS0_EviT2_lT3_lli
; %bb.0:
	s_load_b32 s8, s[0:1], 0x28
	s_bfe_u32 s2, ttmp6, 0x40014
	s_lshr_b32 s3, ttmp7, 16
	s_add_co_i32 s2, s2, 1
	s_bfe_u32 s4, ttmp6, 0x40008
	s_mul_i32 s2, s3, s2
	s_getreg_b32 s9, hwreg(HW_REG_IB_STS2, 6, 4)
	s_add_co_i32 s4, s4, s2
	s_cmp_eq_u32 s9, 0
	s_cselect_b32 s2, s3, s4
	s_mov_b32 s3, 0
	s_wait_kmcnt 0x0
	s_cmp_ge_u32 s2, s8
	s_cbranch_scc1 .LBB89_21
; %bb.1:
	s_clause 0x1
	s_load_b128 s[4:7], s[0:1], 0x18
	s_load_b64 s[10:11], s[0:1], 0x0
	s_bfe_u32 s12, ttmp6, 0x4000c
	s_and_b32 s14, ttmp6, 15
	s_add_co_i32 s12, s12, 1
	v_dual_mov_b32 v1, 0 :: v_dual_lshlrev_b32 v0, 1, v0
	s_mul_i32 s15, ttmp9, s12
	s_load_b64 s[12:13], s[0:1], 0x10
	s_add_co_i32 s14, s14, s15
	s_wait_kmcnt 0x0
	s_lshl_b64 s[4:5], s[4:5], 1
	s_cmp_eq_u32 s9, 0
	s_cselect_b32 s0, ttmp9, s14
	s_lshl_b32 s1, s11, 16
	v_lshl_or_b32 v0, s0, 9, v0
	s_cmp_neq_f32 s1, 1.0
	s_add_nc_u64 s[4:5], s[12:13], s[4:5]
	s_cselect_b32 s9, -1, 0
	s_bitcmp1_b32 s10, 0
	v_or_b32_e32 v2, 1, v0
	s_cselect_b32 s11, -1, 0
	s_add_co_i32 s0, s10, -1
	s_delay_alu instid0(SALU_CYCLE_1) | instskip(NEXT) | instid1(VALU_DEP_2)
	v_cmp_eq_u32_e32 vcc_lo, s0, v0
	v_cmp_gt_u32_e64 s0, s10, v2
	s_and_b32 s10, s11, vcc_lo
	s_branch .LBB89_5
.LBB89_2:                               ;   in Loop: Header=BB89_5 Depth=1
	s_or_b32 exec_lo, exec_lo, s12
	global_store_d16_hi_b16 v[2:3], v5, off
.LBB89_3:                               ;   in Loop: Header=BB89_5 Depth=1
	s_wait_xcnt 0x0
	s_or_b32 exec_lo, exec_lo, s11
.LBB89_4:                               ;   in Loop: Header=BB89_5 Depth=1
	s_add_co_i32 s2, s2, 0x10000
	s_delay_alu instid0(SALU_CYCLE_1)
	s_cmp_lt_u32 s2, s8
	s_cbranch_scc0 .LBB89_21
.LBB89_5:                               ; =>This Inner Loop Header: Depth=1
	s_and_not1_b32 vcc_lo, exec_lo, s9
	s_cbranch_vccnz .LBB89_4
; %bb.6:                                ;   in Loop: Header=BB89_5 Depth=1
	s_mul_u64 s[12:13], s[6:7], s[2:3]
	s_delay_alu instid0(SALU_CYCLE_1) | instskip(NEXT) | instid1(SALU_CYCLE_1)
	s_lshl_b64 s[12:13], s[12:13], 1
	s_add_nc_u64 s[12:13], s[4:5], s[12:13]
	s_delay_alu instid0(SALU_CYCLE_1)
	v_lshl_add_u64 v[2:3], v[0:1], 1, s[12:13]
	s_and_saveexec_b32 s11, s0
	s_cbranch_execz .LBB89_16
; %bb.7:                                ;   in Loop: Header=BB89_5 Depth=1
	global_load_u16 v4, v[2:3], off
	s_wait_loadcnt 0x0
	v_lshlrev_b32_e32 v4, 16, v4
	s_delay_alu instid0(VALU_DEP_1) | instskip(NEXT) | instid1(VALU_DEP_1)
	v_mul_f32_e32 v5, s1, v4
	v_and_b32_e32 v4, 0x7f800000, v5
	s_delay_alu instid0(VALU_DEP_1) | instskip(SKIP_2) | instid1(SALU_CYCLE_1)
	v_cmp_ne_u32_e32 vcc_lo, 0x7f800000, v4
                                        ; implicit-def: $vgpr4
	s_wait_xcnt 0x0
	s_and_saveexec_b32 s12, vcc_lo
	s_xor_b32 s12, exec_lo, s12
; %bb.8:                                ;   in Loop: Header=BB89_5 Depth=1
	v_bfe_u32 v4, v5, 16, 1
	s_delay_alu instid0(VALU_DEP_1)
	v_add3_u32 v4, v5, v4, 0x7fff
                                        ; implicit-def: $vgpr5
; %bb.9:                                ;   in Loop: Header=BB89_5 Depth=1
	s_and_not1_saveexec_b32 s12, s12
; %bb.10:                               ;   in Loop: Header=BB89_5 Depth=1
	v_and_b32_e32 v4, 0xffff, v5
	v_or_b32_e32 v6, 0x10000, v5
	s_delay_alu instid0(VALU_DEP_2) | instskip(NEXT) | instid1(VALU_DEP_2)
	v_cmp_eq_u32_e32 vcc_lo, 0, v4
	v_cndmask_b32_e32 v4, v6, v5, vcc_lo
; %bb.11:                               ;   in Loop: Header=BB89_5 Depth=1
	s_or_b32 exec_lo, exec_lo, s12
	global_load_u16 v5, v[2:3], off offset:2
	s_mov_b32 s12, exec_lo
	global_store_d16_hi_b16 v[2:3], v4, off
                                        ; implicit-def: $vgpr4
	s_wait_loadcnt 0x0
	v_lshlrev_b32_e32 v5, 16, v5
	s_delay_alu instid0(VALU_DEP_1) | instskip(NEXT) | instid1(VALU_DEP_1)
	v_mul_f32_e32 v5, s1, v5
	v_and_b32_e32 v6, 0x7f800000, v5
	s_wait_xcnt 0x0
	s_delay_alu instid0(VALU_DEP_1)
	v_cmpx_ne_u32_e32 0x7f800000, v6
	s_xor_b32 s12, exec_lo, s12
; %bb.12:                               ;   in Loop: Header=BB89_5 Depth=1
	v_bfe_u32 v4, v5, 16, 1
	s_delay_alu instid0(VALU_DEP_1)
	v_add3_u32 v4, v5, v4, 0x7fff
                                        ; implicit-def: $vgpr5
; %bb.13:                               ;   in Loop: Header=BB89_5 Depth=1
	s_and_not1_saveexec_b32 s12, s12
; %bb.14:                               ;   in Loop: Header=BB89_5 Depth=1
	v_and_b32_e32 v4, 0xffff, v5
	v_or_b32_e32 v6, 0x10000, v5
	s_delay_alu instid0(VALU_DEP_2) | instskip(NEXT) | instid1(VALU_DEP_2)
	v_cmp_eq_u32_e32 vcc_lo, 0, v4
	v_cndmask_b32_e32 v4, v6, v5, vcc_lo
; %bb.15:                               ;   in Loop: Header=BB89_5 Depth=1
	s_or_b32 exec_lo, exec_lo, s12
	global_store_d16_hi_b16 v[2:3], v4, off offset:2
.LBB89_16:                              ;   in Loop: Header=BB89_5 Depth=1
	s_wait_xcnt 0x0
	s_or_b32 exec_lo, exec_lo, s11
	s_and_saveexec_b32 s11, s10
	s_cbranch_execz .LBB89_3
; %bb.17:                               ;   in Loop: Header=BB89_5 Depth=1
	global_load_u16 v4, v[2:3], off
	s_wait_loadcnt 0x0
	v_lshlrev_b32_e32 v4, 16, v4
	s_delay_alu instid0(VALU_DEP_1) | instskip(NEXT) | instid1(VALU_DEP_1)
	v_mul_f32_e32 v4, s1, v4
	v_and_b32_e32 v5, 0x7f800000, v4
	s_delay_alu instid0(VALU_DEP_1) | instskip(SKIP_2) | instid1(SALU_CYCLE_1)
	v_cmp_ne_u32_e32 vcc_lo, 0x7f800000, v5
                                        ; implicit-def: $vgpr5
	s_wait_xcnt 0x0
	s_and_saveexec_b32 s12, vcc_lo
	s_xor_b32 s12, exec_lo, s12
; %bb.18:                               ;   in Loop: Header=BB89_5 Depth=1
	v_bfe_u32 v5, v4, 16, 1
	s_delay_alu instid0(VALU_DEP_1)
	v_add3_u32 v5, v4, v5, 0x7fff
                                        ; implicit-def: $vgpr4
; %bb.19:                               ;   in Loop: Header=BB89_5 Depth=1
	s_and_not1_saveexec_b32 s12, s12
	s_cbranch_execz .LBB89_2
; %bb.20:                               ;   in Loop: Header=BB89_5 Depth=1
	v_and_b32_e32 v5, 0xffff, v4
	v_or_b32_e32 v6, 0x10000, v4
	s_delay_alu instid0(VALU_DEP_2) | instskip(NEXT) | instid1(VALU_DEP_2)
	v_cmp_eq_u32_e32 vcc_lo, 0, v5
	v_cndmask_b32_e32 v5, v6, v4, vcc_lo
	s_branch .LBB89_2
.LBB89_21:
	s_endpgm
	.section	.rodata,"a",@progbits
	.p2align	6, 0x0
	.amdhsa_kernel _ZL22rocblas_sscal_2_kernelILi256E16rocblas_bfloat16fS0_PS0_EviT2_lT3_lli
		.amdhsa_group_segment_fixed_size 0
		.amdhsa_private_segment_fixed_size 0
		.amdhsa_kernarg_size 44
		.amdhsa_user_sgpr_count 2
		.amdhsa_user_sgpr_dispatch_ptr 0
		.amdhsa_user_sgpr_queue_ptr 0
		.amdhsa_user_sgpr_kernarg_segment_ptr 1
		.amdhsa_user_sgpr_dispatch_id 0
		.amdhsa_user_sgpr_kernarg_preload_length 0
		.amdhsa_user_sgpr_kernarg_preload_offset 0
		.amdhsa_user_sgpr_private_segment_size 0
		.amdhsa_wavefront_size32 1
		.amdhsa_uses_dynamic_stack 0
		.amdhsa_enable_private_segment 0
		.amdhsa_system_sgpr_workgroup_id_x 1
		.amdhsa_system_sgpr_workgroup_id_y 0
		.amdhsa_system_sgpr_workgroup_id_z 1
		.amdhsa_system_sgpr_workgroup_info 0
		.amdhsa_system_vgpr_workitem_id 0
		.amdhsa_next_free_vgpr 7
		.amdhsa_next_free_sgpr 16
		.amdhsa_named_barrier_count 0
		.amdhsa_reserve_vcc 1
		.amdhsa_float_round_mode_32 0
		.amdhsa_float_round_mode_16_64 0
		.amdhsa_float_denorm_mode_32 3
		.amdhsa_float_denorm_mode_16_64 3
		.amdhsa_fp16_overflow 0
		.amdhsa_memory_ordered 1
		.amdhsa_forward_progress 1
		.amdhsa_inst_pref_size 6
		.amdhsa_round_robin_scheduling 0
		.amdhsa_exception_fp_ieee_invalid_op 0
		.amdhsa_exception_fp_denorm_src 0
		.amdhsa_exception_fp_ieee_div_zero 0
		.amdhsa_exception_fp_ieee_overflow 0
		.amdhsa_exception_fp_ieee_underflow 0
		.amdhsa_exception_fp_ieee_inexact 0
		.amdhsa_exception_int_div_zero 0
	.end_amdhsa_kernel
	.section	.text._ZL22rocblas_sscal_2_kernelILi256E16rocblas_bfloat16fS0_PS0_EviT2_lT3_lli,"axG",@progbits,_ZL22rocblas_sscal_2_kernelILi256E16rocblas_bfloat16fS0_PS0_EviT2_lT3_lli,comdat
.Lfunc_end89:
	.size	_ZL22rocblas_sscal_2_kernelILi256E16rocblas_bfloat16fS0_PS0_EviT2_lT3_lli, .Lfunc_end89-_ZL22rocblas_sscal_2_kernelILi256E16rocblas_bfloat16fS0_PS0_EviT2_lT3_lli
                                        ; -- End function
	.set _ZL22rocblas_sscal_2_kernelILi256E16rocblas_bfloat16fS0_PS0_EviT2_lT3_lli.num_vgpr, 7
	.set _ZL22rocblas_sscal_2_kernelILi256E16rocblas_bfloat16fS0_PS0_EviT2_lT3_lli.num_agpr, 0
	.set _ZL22rocblas_sscal_2_kernelILi256E16rocblas_bfloat16fS0_PS0_EviT2_lT3_lli.numbered_sgpr, 16
	.set _ZL22rocblas_sscal_2_kernelILi256E16rocblas_bfloat16fS0_PS0_EviT2_lT3_lli.num_named_barrier, 0
	.set _ZL22rocblas_sscal_2_kernelILi256E16rocblas_bfloat16fS0_PS0_EviT2_lT3_lli.private_seg_size, 0
	.set _ZL22rocblas_sscal_2_kernelILi256E16rocblas_bfloat16fS0_PS0_EviT2_lT3_lli.uses_vcc, 1
	.set _ZL22rocblas_sscal_2_kernelILi256E16rocblas_bfloat16fS0_PS0_EviT2_lT3_lli.uses_flat_scratch, 0
	.set _ZL22rocblas_sscal_2_kernelILi256E16rocblas_bfloat16fS0_PS0_EviT2_lT3_lli.has_dyn_sized_stack, 0
	.set _ZL22rocblas_sscal_2_kernelILi256E16rocblas_bfloat16fS0_PS0_EviT2_lT3_lli.has_recursion, 0
	.set _ZL22rocblas_sscal_2_kernelILi256E16rocblas_bfloat16fS0_PS0_EviT2_lT3_lli.has_indirect_call, 0
	.section	.AMDGPU.csdata,"",@progbits
; Kernel info:
; codeLenInByte = 704
; TotalNumSgprs: 18
; NumVgprs: 7
; ScratchSize: 0
; MemoryBound: 0
; FloatMode: 240
; IeeeMode: 1
; LDSByteSize: 0 bytes/workgroup (compile time only)
; SGPRBlocks: 0
; VGPRBlocks: 0
; NumSGPRsForWavesPerEU: 18
; NumVGPRsForWavesPerEU: 7
; NamedBarCnt: 0
; Occupancy: 16
; WaveLimiterHint : 0
; COMPUTE_PGM_RSRC2:SCRATCH_EN: 0
; COMPUTE_PGM_RSRC2:USER_SGPR: 2
; COMPUTE_PGM_RSRC2:TRAP_HANDLER: 0
; COMPUTE_PGM_RSRC2:TGID_X_EN: 1
; COMPUTE_PGM_RSRC2:TGID_Y_EN: 0
; COMPUTE_PGM_RSRC2:TGID_Z_EN: 1
; COMPUTE_PGM_RSRC2:TIDIG_COMP_CNT: 0
	.section	.text._ZL19rocblas_scal_kernelIiLi256E16rocblas_bfloat16fPKS0_PS0_EviT3_lT4_lT_li,"axG",@progbits,_ZL19rocblas_scal_kernelIiLi256E16rocblas_bfloat16fPKS0_PS0_EviT3_lT4_lT_li,comdat
	.globl	_ZL19rocblas_scal_kernelIiLi256E16rocblas_bfloat16fPKS0_PS0_EviT3_lT4_lT_li ; -- Begin function _ZL19rocblas_scal_kernelIiLi256E16rocblas_bfloat16fPKS0_PS0_EviT3_lT4_lT_li
	.p2align	8
	.type	_ZL19rocblas_scal_kernelIiLi256E16rocblas_bfloat16fPKS0_PS0_EviT3_lT4_lT_li,@function
_ZL19rocblas_scal_kernelIiLi256E16rocblas_bfloat16fPKS0_PS0_EviT3_lT4_lT_li: ; @_ZL19rocblas_scal_kernelIiLi256E16rocblas_bfloat16fPKS0_PS0_EviT3_lT4_lT_li
; %bb.0:
	s_load_b32 s14, s[0:1], 0x38
	s_bfe_u32 s2, ttmp6, 0x40014
	s_lshr_b32 s3, ttmp7, 16
	s_add_co_i32 s2, s2, 1
	s_bfe_u32 s4, ttmp6, 0x40008
	s_mul_i32 s2, s3, s2
	s_getreg_b32 s15, hwreg(HW_REG_IB_STS2, 6, 4)
	s_add_co_i32 s4, s4, s2
	s_cmp_eq_u32 s15, 0
	s_cselect_b32 s2, s3, s4
	s_mov_b32 s3, 0
	s_wait_kmcnt 0x0
	s_cmp_ge_u32 s2, s14
	s_cbranch_scc1 .LBB90_9
; %bb.1:
	s_clause 0x1
	s_load_b32 s16, s[0:1], 0x28
	s_load_b256 s[4:11], s[0:1], 0x8
	s_bfe_u32 s12, ttmp6, 0x4000c
	s_and_b32 s17, ttmp6, 15
	s_add_co_i32 s12, s12, 1
	v_mov_b32_e32 v1, 0
	s_mul_i32 s18, ttmp9, s12
	s_load_b64 s[12:13], s[0:1], 0x30
	s_add_co_i32 s18, s17, s18
	s_wait_kmcnt 0x0
	s_ashr_i32 s17, s16, 31
	s_lshl_b64 s[10:11], s[10:11], 1
	s_cmp_eq_u32 s15, 0
	s_cselect_b32 s15, ttmp9, s18
	s_delay_alu instid0(SALU_CYCLE_1) | instskip(SKIP_3) | instid1(VALU_DEP_1)
	v_lshl_or_b32 v0, s15, 8, v0
	s_load_b32 s15, s[0:1], 0x0
	s_wait_xcnt 0x0
	s_add_nc_u64 s[0:1], s[8:9], s[10:11]
	v_mul_u64_e32 v[2:3], s[16:17], v[0:1]
	s_wait_kmcnt 0x0
	v_cmp_gt_u32_e32 vcc_lo, s15, v0
	s_delay_alu instid0(VALU_DEP_2)
	v_lshl_add_u64 v[2:3], v[2:3], 1, s[0:1]
	s_branch .LBB90_4
.LBB90_2:                               ;   in Loop: Header=BB90_4 Depth=1
	s_or_b32 exec_lo, exec_lo, s8
	global_store_d16_hi_b16 v[4:5], v6, off
.LBB90_3:                               ;   in Loop: Header=BB90_4 Depth=1
	s_wait_xcnt 0x0
	s_or_b32 exec_lo, exec_lo, s1
	s_add_co_i32 s2, s2, 0x10000
	s_delay_alu instid0(SALU_CYCLE_1)
	s_cmp_lt_u32 s2, s14
	s_cbranch_scc0 .LBB90_9
.LBB90_4:                               ; =>This Inner Loop Header: Depth=1
	s_mul_u64 s[0:1], s[6:7], s[2:3]
	s_delay_alu instid0(SALU_CYCLE_1) | instskip(NEXT) | instid1(SALU_CYCLE_1)
	s_lshl_b64 s[0:1], s[0:1], 1
	s_add_nc_u64 s[0:1], s[4:5], s[0:1]
	global_load_u16 v0, v1, s[0:1]
	s_wait_loadcnt 0x0
	s_wait_xcnt 0x0
	v_readfirstlane_b32 s0, v0
	s_lshl_b32 s0, s0, 16
	s_delay_alu instid0(SALU_CYCLE_1) | instskip(SKIP_1) | instid1(SALU_CYCLE_1)
	s_cmp_neq_f32 s0, 1.0
	s_cselect_b32 s1, -1, 0
	s_and_b32 s8, vcc_lo, s1
	s_delay_alu instid0(SALU_CYCLE_1)
	s_and_saveexec_b32 s1, s8
	s_cbranch_execz .LBB90_3
; %bb.5:                                ;   in Loop: Header=BB90_4 Depth=1
	s_mul_u64 s[8:9], s[12:13], s[2:3]
	s_delay_alu instid0(SALU_CYCLE_1) | instskip(SKIP_3) | instid1(VALU_DEP_1)
	v_lshl_add_u64 v[4:5], s[8:9], 1, v[2:3]
	global_load_u16 v0, v[4:5], off
	s_wait_loadcnt 0x0
	v_lshlrev_b32_e32 v0, 16, v0
	v_mul_f32_e32 v0, s0, v0
	s_delay_alu instid0(VALU_DEP_1) | instskip(NEXT) | instid1(VALU_DEP_1)
	v_and_b32_e32 v6, 0x7f800000, v0
	v_cmp_ne_u32_e64 s0, 0x7f800000, v6
                                        ; implicit-def: $vgpr6
	s_wait_xcnt 0x0
	s_and_saveexec_b32 s8, s0
	s_delay_alu instid0(SALU_CYCLE_1)
	s_xor_b32 s0, exec_lo, s8
; %bb.6:                                ;   in Loop: Header=BB90_4 Depth=1
	v_bfe_u32 v6, v0, 16, 1
	s_delay_alu instid0(VALU_DEP_1)
	v_add3_u32 v6, v0, v6, 0x7fff
                                        ; implicit-def: $vgpr0
; %bb.7:                                ;   in Loop: Header=BB90_4 Depth=1
	s_and_not1_saveexec_b32 s8, s0
	s_cbranch_execz .LBB90_2
; %bb.8:                                ;   in Loop: Header=BB90_4 Depth=1
	v_and_b32_e32 v6, 0xffff, v0
	v_or_b32_e32 v7, 0x10000, v0
	s_delay_alu instid0(VALU_DEP_2) | instskip(NEXT) | instid1(VALU_DEP_1)
	v_cmp_eq_u32_e64 s0, 0, v6
	v_cndmask_b32_e64 v6, v7, v0, s0
	s_branch .LBB90_2
.LBB90_9:
	s_endpgm
	.section	.rodata,"a",@progbits
	.p2align	6, 0x0
	.amdhsa_kernel _ZL19rocblas_scal_kernelIiLi256E16rocblas_bfloat16fPKS0_PS0_EviT3_lT4_lT_li
		.amdhsa_group_segment_fixed_size 0
		.amdhsa_private_segment_fixed_size 0
		.amdhsa_kernarg_size 60
		.amdhsa_user_sgpr_count 2
		.amdhsa_user_sgpr_dispatch_ptr 0
		.amdhsa_user_sgpr_queue_ptr 0
		.amdhsa_user_sgpr_kernarg_segment_ptr 1
		.amdhsa_user_sgpr_dispatch_id 0
		.amdhsa_user_sgpr_kernarg_preload_length 0
		.amdhsa_user_sgpr_kernarg_preload_offset 0
		.amdhsa_user_sgpr_private_segment_size 0
		.amdhsa_wavefront_size32 1
		.amdhsa_uses_dynamic_stack 0
		.amdhsa_enable_private_segment 0
		.amdhsa_system_sgpr_workgroup_id_x 1
		.amdhsa_system_sgpr_workgroup_id_y 0
		.amdhsa_system_sgpr_workgroup_id_z 1
		.amdhsa_system_sgpr_workgroup_info 0
		.amdhsa_system_vgpr_workitem_id 0
		.amdhsa_next_free_vgpr 8
		.amdhsa_next_free_sgpr 19
		.amdhsa_named_barrier_count 0
		.amdhsa_reserve_vcc 1
		.amdhsa_float_round_mode_32 0
		.amdhsa_float_round_mode_16_64 0
		.amdhsa_float_denorm_mode_32 3
		.amdhsa_float_denorm_mode_16_64 3
		.amdhsa_fp16_overflow 0
		.amdhsa_memory_ordered 1
		.amdhsa_forward_progress 1
		.amdhsa_inst_pref_size 4
		.amdhsa_round_robin_scheduling 0
		.amdhsa_exception_fp_ieee_invalid_op 0
		.amdhsa_exception_fp_denorm_src 0
		.amdhsa_exception_fp_ieee_div_zero 0
		.amdhsa_exception_fp_ieee_overflow 0
		.amdhsa_exception_fp_ieee_underflow 0
		.amdhsa_exception_fp_ieee_inexact 0
		.amdhsa_exception_int_div_zero 0
	.end_amdhsa_kernel
	.section	.text._ZL19rocblas_scal_kernelIiLi256E16rocblas_bfloat16fPKS0_PS0_EviT3_lT4_lT_li,"axG",@progbits,_ZL19rocblas_scal_kernelIiLi256E16rocblas_bfloat16fPKS0_PS0_EviT3_lT4_lT_li,comdat
.Lfunc_end90:
	.size	_ZL19rocblas_scal_kernelIiLi256E16rocblas_bfloat16fPKS0_PS0_EviT3_lT4_lT_li, .Lfunc_end90-_ZL19rocblas_scal_kernelIiLi256E16rocblas_bfloat16fPKS0_PS0_EviT3_lT4_lT_li
                                        ; -- End function
	.set _ZL19rocblas_scal_kernelIiLi256E16rocblas_bfloat16fPKS0_PS0_EviT3_lT4_lT_li.num_vgpr, 8
	.set _ZL19rocblas_scal_kernelIiLi256E16rocblas_bfloat16fPKS0_PS0_EviT3_lT4_lT_li.num_agpr, 0
	.set _ZL19rocblas_scal_kernelIiLi256E16rocblas_bfloat16fPKS0_PS0_EviT3_lT4_lT_li.numbered_sgpr, 19
	.set _ZL19rocblas_scal_kernelIiLi256E16rocblas_bfloat16fPKS0_PS0_EviT3_lT4_lT_li.num_named_barrier, 0
	.set _ZL19rocblas_scal_kernelIiLi256E16rocblas_bfloat16fPKS0_PS0_EviT3_lT4_lT_li.private_seg_size, 0
	.set _ZL19rocblas_scal_kernelIiLi256E16rocblas_bfloat16fPKS0_PS0_EviT3_lT4_lT_li.uses_vcc, 1
	.set _ZL19rocblas_scal_kernelIiLi256E16rocblas_bfloat16fPKS0_PS0_EviT3_lT4_lT_li.uses_flat_scratch, 0
	.set _ZL19rocblas_scal_kernelIiLi256E16rocblas_bfloat16fPKS0_PS0_EviT3_lT4_lT_li.has_dyn_sized_stack, 0
	.set _ZL19rocblas_scal_kernelIiLi256E16rocblas_bfloat16fPKS0_PS0_EviT3_lT4_lT_li.has_recursion, 0
	.set _ZL19rocblas_scal_kernelIiLi256E16rocblas_bfloat16fPKS0_PS0_EviT3_lT4_lT_li.has_indirect_call, 0
	.section	.AMDGPU.csdata,"",@progbits
; Kernel info:
; codeLenInByte = 472
; TotalNumSgprs: 21
; NumVgprs: 8
; ScratchSize: 0
; MemoryBound: 0
; FloatMode: 240
; IeeeMode: 1
; LDSByteSize: 0 bytes/workgroup (compile time only)
; SGPRBlocks: 0
; VGPRBlocks: 0
; NumSGPRsForWavesPerEU: 21
; NumVGPRsForWavesPerEU: 8
; NamedBarCnt: 0
; Occupancy: 16
; WaveLimiterHint : 0
; COMPUTE_PGM_RSRC2:SCRATCH_EN: 0
; COMPUTE_PGM_RSRC2:USER_SGPR: 2
; COMPUTE_PGM_RSRC2:TRAP_HANDLER: 0
; COMPUTE_PGM_RSRC2:TGID_X_EN: 1
; COMPUTE_PGM_RSRC2:TGID_Y_EN: 0
; COMPUTE_PGM_RSRC2:TGID_Z_EN: 1
; COMPUTE_PGM_RSRC2:TIDIG_COMP_CNT: 0
	.section	.text._ZL19rocblas_scal_kernelIiLi256E16rocblas_bfloat16fS0_PS0_EviT3_lT4_lT_li,"axG",@progbits,_ZL19rocblas_scal_kernelIiLi256E16rocblas_bfloat16fS0_PS0_EviT3_lT4_lT_li,comdat
	.globl	_ZL19rocblas_scal_kernelIiLi256E16rocblas_bfloat16fS0_PS0_EviT3_lT4_lT_li ; -- Begin function _ZL19rocblas_scal_kernelIiLi256E16rocblas_bfloat16fS0_PS0_EviT3_lT4_lT_li
	.p2align	8
	.type	_ZL19rocblas_scal_kernelIiLi256E16rocblas_bfloat16fS0_PS0_EviT3_lT4_lT_li,@function
_ZL19rocblas_scal_kernelIiLi256E16rocblas_bfloat16fS0_PS0_EviT3_lT4_lT_li: ; @_ZL19rocblas_scal_kernelIiLi256E16rocblas_bfloat16fS0_PS0_EviT3_lT4_lT_li
; %bb.0:
	s_load_b32 s6, s[0:1], 0x30
	s_bfe_u32 s2, ttmp6, 0x40014
	s_lshr_b32 s3, ttmp7, 16
	s_add_co_i32 s2, s2, 1
	s_bfe_u32 s4, ttmp6, 0x40008
	s_mul_i32 s2, s3, s2
	s_getreg_b32 s7, hwreg(HW_REG_IB_STS2, 6, 4)
	s_add_co_i32 s4, s4, s2
	s_cmp_eq_u32 s7, 0
	s_cselect_b32 s2, s3, s4
	s_mov_b32 s3, 0
	s_wait_kmcnt 0x0
	s_cmp_ge_u32 s2, s6
	s_cbranch_scc1 .LBB91_9
; %bb.1:
	s_clause 0x1
	s_load_b32 s12, s[0:1], 0x20
	s_load_b128 s[8:11], s[0:1], 0x10
	s_bfe_u32 s4, ttmp6, 0x4000c
	s_and_b32 s13, ttmp6, 15
	s_add_co_i32 s4, s4, 1
	v_mov_b32_e32 v1, 0
	s_mul_i32 s14, ttmp9, s4
	s_load_b64 s[4:5], s[0:1], 0x28
	s_add_co_i32 s14, s13, s14
	s_wait_kmcnt 0x0
	s_ashr_i32 s13, s12, 31
	s_lshl_b64 s[10:11], s[10:11], 1
	s_cmp_eq_u32 s7, 0
	s_add_nc_u64 s[8:9], s[8:9], s[10:11]
	s_cselect_b32 s7, ttmp9, s14
	s_delay_alu instid0(SALU_CYCLE_1) | instskip(NEXT) | instid1(VALU_DEP_1)
	v_lshl_or_b32 v0, s7, 8, v0
	v_mul_u64_e32 v[2:3], s[12:13], v[0:1]
	s_load_b64 s[12:13], s[0:1], 0x0
	s_wait_kmcnt 0x0
	s_lshl_b32 s0, s13, 16
	v_cmp_gt_u32_e32 vcc_lo, s12, v0
	s_cmp_neq_f32 s0, 1.0
	s_cselect_b32 s1, -1, 0
	s_delay_alu instid0(SALU_CYCLE_1) | instskip(NEXT) | instid1(VALU_DEP_2)
	s_and_b32 s1, vcc_lo, s1
	v_lshl_add_u64 v[0:1], v[2:3], 1, s[8:9]
	s_branch .LBB91_4
.LBB91_2:                               ;   in Loop: Header=BB91_4 Depth=1
	s_or_b32 exec_lo, exec_lo, s8
	global_store_d16_hi_b16 v[2:3], v5, off
.LBB91_3:                               ;   in Loop: Header=BB91_4 Depth=1
	s_wait_xcnt 0x0
	s_or_b32 exec_lo, exec_lo, s7
	s_add_co_i32 s2, s2, 0x10000
	s_delay_alu instid0(SALU_CYCLE_1)
	s_cmp_lt_u32 s2, s6
	s_cbranch_scc0 .LBB91_9
.LBB91_4:                               ; =>This Inner Loop Header: Depth=1
	s_and_saveexec_b32 s7, s1
	s_cbranch_execz .LBB91_3
; %bb.5:                                ;   in Loop: Header=BB91_4 Depth=1
	s_mul_u64 s[8:9], s[4:5], s[2:3]
	s_delay_alu instid0(SALU_CYCLE_1) | instskip(SKIP_3) | instid1(VALU_DEP_1)
	v_lshl_add_u64 v[2:3], s[8:9], 1, v[0:1]
	global_load_u16 v4, v[2:3], off
	s_wait_loadcnt 0x0
	v_lshlrev_b32_e32 v4, 16, v4
	v_mul_f32_e32 v4, s0, v4
	s_delay_alu instid0(VALU_DEP_1) | instskip(NEXT) | instid1(VALU_DEP_1)
	v_and_b32_e32 v5, 0x7f800000, v4
	v_cmp_ne_u32_e32 vcc_lo, 0x7f800000, v5
                                        ; implicit-def: $vgpr5
	s_wait_xcnt 0x0
	s_and_saveexec_b32 s8, vcc_lo
	s_delay_alu instid0(SALU_CYCLE_1)
	s_xor_b32 s8, exec_lo, s8
; %bb.6:                                ;   in Loop: Header=BB91_4 Depth=1
	v_bfe_u32 v5, v4, 16, 1
	s_delay_alu instid0(VALU_DEP_1)
	v_add3_u32 v5, v4, v5, 0x7fff
                                        ; implicit-def: $vgpr4
; %bb.7:                                ;   in Loop: Header=BB91_4 Depth=1
	s_and_not1_saveexec_b32 s8, s8
	s_cbranch_execz .LBB91_2
; %bb.8:                                ;   in Loop: Header=BB91_4 Depth=1
	v_and_b32_e32 v5, 0xffff, v4
	v_or_b32_e32 v6, 0x10000, v4
	s_delay_alu instid0(VALU_DEP_2) | instskip(NEXT) | instid1(VALU_DEP_2)
	v_cmp_eq_u32_e32 vcc_lo, 0, v5
	v_cndmask_b32_e32 v5, v6, v4, vcc_lo
	s_branch .LBB91_2
.LBB91_9:
	s_endpgm
	.section	.rodata,"a",@progbits
	.p2align	6, 0x0
	.amdhsa_kernel _ZL19rocblas_scal_kernelIiLi256E16rocblas_bfloat16fS0_PS0_EviT3_lT4_lT_li
		.amdhsa_group_segment_fixed_size 0
		.amdhsa_private_segment_fixed_size 0
		.amdhsa_kernarg_size 52
		.amdhsa_user_sgpr_count 2
		.amdhsa_user_sgpr_dispatch_ptr 0
		.amdhsa_user_sgpr_queue_ptr 0
		.amdhsa_user_sgpr_kernarg_segment_ptr 1
		.amdhsa_user_sgpr_dispatch_id 0
		.amdhsa_user_sgpr_kernarg_preload_length 0
		.amdhsa_user_sgpr_kernarg_preload_offset 0
		.amdhsa_user_sgpr_private_segment_size 0
		.amdhsa_wavefront_size32 1
		.amdhsa_uses_dynamic_stack 0
		.amdhsa_enable_private_segment 0
		.amdhsa_system_sgpr_workgroup_id_x 1
		.amdhsa_system_sgpr_workgroup_id_y 0
		.amdhsa_system_sgpr_workgroup_id_z 1
		.amdhsa_system_sgpr_workgroup_info 0
		.amdhsa_system_vgpr_workitem_id 0
		.amdhsa_next_free_vgpr 7
		.amdhsa_next_free_sgpr 15
		.amdhsa_named_barrier_count 0
		.amdhsa_reserve_vcc 1
		.amdhsa_float_round_mode_32 0
		.amdhsa_float_round_mode_16_64 0
		.amdhsa_float_denorm_mode_32 3
		.amdhsa_float_denorm_mode_16_64 3
		.amdhsa_fp16_overflow 0
		.amdhsa_memory_ordered 1
		.amdhsa_forward_progress 1
		.amdhsa_inst_pref_size 4
		.amdhsa_round_robin_scheduling 0
		.amdhsa_exception_fp_ieee_invalid_op 0
		.amdhsa_exception_fp_denorm_src 0
		.amdhsa_exception_fp_ieee_div_zero 0
		.amdhsa_exception_fp_ieee_overflow 0
		.amdhsa_exception_fp_ieee_underflow 0
		.amdhsa_exception_fp_ieee_inexact 0
		.amdhsa_exception_int_div_zero 0
	.end_amdhsa_kernel
	.section	.text._ZL19rocblas_scal_kernelIiLi256E16rocblas_bfloat16fS0_PS0_EviT3_lT4_lT_li,"axG",@progbits,_ZL19rocblas_scal_kernelIiLi256E16rocblas_bfloat16fS0_PS0_EviT3_lT4_lT_li,comdat
.Lfunc_end91:
	.size	_ZL19rocblas_scal_kernelIiLi256E16rocblas_bfloat16fS0_PS0_EviT3_lT4_lT_li, .Lfunc_end91-_ZL19rocblas_scal_kernelIiLi256E16rocblas_bfloat16fS0_PS0_EviT3_lT4_lT_li
                                        ; -- End function
	.set _ZL19rocblas_scal_kernelIiLi256E16rocblas_bfloat16fS0_PS0_EviT3_lT4_lT_li.num_vgpr, 7
	.set _ZL19rocblas_scal_kernelIiLi256E16rocblas_bfloat16fS0_PS0_EviT3_lT4_lT_li.num_agpr, 0
	.set _ZL19rocblas_scal_kernelIiLi256E16rocblas_bfloat16fS0_PS0_EviT3_lT4_lT_li.numbered_sgpr, 15
	.set _ZL19rocblas_scal_kernelIiLi256E16rocblas_bfloat16fS0_PS0_EviT3_lT4_lT_li.num_named_barrier, 0
	.set _ZL19rocblas_scal_kernelIiLi256E16rocblas_bfloat16fS0_PS0_EviT3_lT4_lT_li.private_seg_size, 0
	.set _ZL19rocblas_scal_kernelIiLi256E16rocblas_bfloat16fS0_PS0_EviT3_lT4_lT_li.uses_vcc, 1
	.set _ZL19rocblas_scal_kernelIiLi256E16rocblas_bfloat16fS0_PS0_EviT3_lT4_lT_li.uses_flat_scratch, 0
	.set _ZL19rocblas_scal_kernelIiLi256E16rocblas_bfloat16fS0_PS0_EviT3_lT4_lT_li.has_dyn_sized_stack, 0
	.set _ZL19rocblas_scal_kernelIiLi256E16rocblas_bfloat16fS0_PS0_EviT3_lT4_lT_li.has_recursion, 0
	.set _ZL19rocblas_scal_kernelIiLi256E16rocblas_bfloat16fS0_PS0_EviT3_lT4_lT_li.has_indirect_call, 0
	.section	.AMDGPU.csdata,"",@progbits
; Kernel info:
; codeLenInByte = 408
; TotalNumSgprs: 17
; NumVgprs: 7
; ScratchSize: 0
; MemoryBound: 0
; FloatMode: 240
; IeeeMode: 1
; LDSByteSize: 0 bytes/workgroup (compile time only)
; SGPRBlocks: 0
; VGPRBlocks: 0
; NumSGPRsForWavesPerEU: 17
; NumVGPRsForWavesPerEU: 7
; NamedBarCnt: 0
; Occupancy: 16
; WaveLimiterHint : 0
; COMPUTE_PGM_RSRC2:SCRATCH_EN: 0
; COMPUTE_PGM_RSRC2:USER_SGPR: 2
; COMPUTE_PGM_RSRC2:TRAP_HANDLER: 0
; COMPUTE_PGM_RSRC2:TGID_X_EN: 1
; COMPUTE_PGM_RSRC2:TGID_Y_EN: 0
; COMPUTE_PGM_RSRC2:TGID_Z_EN: 1
; COMPUTE_PGM_RSRC2:TIDIG_COMP_CNT: 0
	.section	.text._ZL19rocblas_scal_kernelIlLi256E16rocblas_bfloat16fPKS0_PS0_EviT3_lT4_lT_li,"axG",@progbits,_ZL19rocblas_scal_kernelIlLi256E16rocblas_bfloat16fPKS0_PS0_EviT3_lT4_lT_li,comdat
	.globl	_ZL19rocblas_scal_kernelIlLi256E16rocblas_bfloat16fPKS0_PS0_EviT3_lT4_lT_li ; -- Begin function _ZL19rocblas_scal_kernelIlLi256E16rocblas_bfloat16fPKS0_PS0_EviT3_lT4_lT_li
	.p2align	8
	.type	_ZL19rocblas_scal_kernelIlLi256E16rocblas_bfloat16fPKS0_PS0_EviT3_lT4_lT_li,@function
_ZL19rocblas_scal_kernelIlLi256E16rocblas_bfloat16fPKS0_PS0_EviT3_lT4_lT_li: ; @_ZL19rocblas_scal_kernelIlLi256E16rocblas_bfloat16fPKS0_PS0_EviT3_lT4_lT_li
; %bb.0:
	s_load_b32 s16, s[0:1], 0x38
	s_bfe_u32 s2, ttmp6, 0x40014
	s_lshr_b32 s3, ttmp7, 16
	s_add_co_i32 s2, s2, 1
	s_bfe_u32 s4, ttmp6, 0x40008
	s_mul_i32 s2, s3, s2
	s_getreg_b32 s17, hwreg(HW_REG_IB_STS2, 6, 4)
	s_add_co_i32 s4, s4, s2
	s_cmp_eq_u32 s17, 0
	s_cselect_b32 s2, s3, s4
	s_mov_b32 s3, 0
	s_wait_kmcnt 0x0
	s_cmp_ge_u32 s2, s16
	s_cbranch_scc1 .LBB92_9
; %bb.1:
	s_clause 0x1
	s_load_b256 s[4:11], s[0:1], 0x8
	s_load_b128 s[12:15], s[0:1], 0x28
	s_bfe_u32 s18, ttmp6, 0x4000c
	s_and_b32 s19, ttmp6, 15
	s_add_co_i32 s18, s18, 1
	v_mov_b32_e32 v1, 0
	s_mul_i32 s18, ttmp9, s18
	s_delay_alu instid0(SALU_CYCLE_1) | instskip(SKIP_4) | instid1(SALU_CYCLE_1)
	s_add_co_i32 s19, s19, s18
	s_wait_kmcnt 0x0
	s_lshl_b64 s[10:11], s[10:11], 1
	s_cmp_eq_u32 s17, 0
	s_cselect_b32 s17, ttmp9, s19
	v_lshl_or_b32 v0, s17, 8, v0
	s_delay_alu instid0(VALU_DEP_1)
	v_mul_u64_e32 v[2:3], s[12:13], v[0:1]
	s_load_b32 s12, s[0:1], 0x0
	s_wait_xcnt 0x0
	s_add_nc_u64 s[0:1], s[8:9], s[10:11]
	s_wait_kmcnt 0x0
	v_cmp_gt_u32_e32 vcc_lo, s12, v0
	s_delay_alu instid0(VALU_DEP_2)
	v_lshl_add_u64 v[2:3], v[2:3], 1, s[0:1]
	s_branch .LBB92_4
.LBB92_2:                               ;   in Loop: Header=BB92_4 Depth=1
	s_or_b32 exec_lo, exec_lo, s8
	global_store_d16_hi_b16 v[4:5], v6, off
.LBB92_3:                               ;   in Loop: Header=BB92_4 Depth=1
	s_wait_xcnt 0x0
	s_or_b32 exec_lo, exec_lo, s1
	s_add_co_i32 s2, s2, 0x10000
	s_delay_alu instid0(SALU_CYCLE_1)
	s_cmp_lt_u32 s2, s16
	s_cbranch_scc0 .LBB92_9
.LBB92_4:                               ; =>This Inner Loop Header: Depth=1
	s_mul_u64 s[0:1], s[6:7], s[2:3]
	s_delay_alu instid0(SALU_CYCLE_1) | instskip(NEXT) | instid1(SALU_CYCLE_1)
	s_lshl_b64 s[0:1], s[0:1], 1
	s_add_nc_u64 s[0:1], s[4:5], s[0:1]
	global_load_u16 v0, v1, s[0:1]
	s_wait_loadcnt 0x0
	s_wait_xcnt 0x0
	v_readfirstlane_b32 s0, v0
	s_lshl_b32 s0, s0, 16
	s_delay_alu instid0(SALU_CYCLE_1) | instskip(SKIP_1) | instid1(SALU_CYCLE_1)
	s_cmp_neq_f32 s0, 1.0
	s_cselect_b32 s1, -1, 0
	s_and_b32 s8, vcc_lo, s1
	s_delay_alu instid0(SALU_CYCLE_1)
	s_and_saveexec_b32 s1, s8
	s_cbranch_execz .LBB92_3
; %bb.5:                                ;   in Loop: Header=BB92_4 Depth=1
	s_mul_u64 s[8:9], s[14:15], s[2:3]
	s_delay_alu instid0(SALU_CYCLE_1) | instskip(SKIP_3) | instid1(VALU_DEP_1)
	v_lshl_add_u64 v[4:5], s[8:9], 1, v[2:3]
	global_load_u16 v0, v[4:5], off
	s_wait_loadcnt 0x0
	v_lshlrev_b32_e32 v0, 16, v0
	v_mul_f32_e32 v0, s0, v0
	s_delay_alu instid0(VALU_DEP_1) | instskip(NEXT) | instid1(VALU_DEP_1)
	v_and_b32_e32 v6, 0x7f800000, v0
	v_cmp_ne_u32_e64 s0, 0x7f800000, v6
                                        ; implicit-def: $vgpr6
	s_wait_xcnt 0x0
	s_and_saveexec_b32 s8, s0
	s_delay_alu instid0(SALU_CYCLE_1)
	s_xor_b32 s0, exec_lo, s8
; %bb.6:                                ;   in Loop: Header=BB92_4 Depth=1
	v_bfe_u32 v6, v0, 16, 1
	s_delay_alu instid0(VALU_DEP_1)
	v_add3_u32 v6, v0, v6, 0x7fff
                                        ; implicit-def: $vgpr0
; %bb.7:                                ;   in Loop: Header=BB92_4 Depth=1
	s_and_not1_saveexec_b32 s8, s0
	s_cbranch_execz .LBB92_2
; %bb.8:                                ;   in Loop: Header=BB92_4 Depth=1
	v_and_b32_e32 v6, 0xffff, v0
	v_or_b32_e32 v7, 0x10000, v0
	s_delay_alu instid0(VALU_DEP_2) | instskip(NEXT) | instid1(VALU_DEP_1)
	v_cmp_eq_u32_e64 s0, 0, v6
	v_cndmask_b32_e64 v6, v7, v0, s0
	s_branch .LBB92_2
.LBB92_9:
	s_endpgm
	.section	.rodata,"a",@progbits
	.p2align	6, 0x0
	.amdhsa_kernel _ZL19rocblas_scal_kernelIlLi256E16rocblas_bfloat16fPKS0_PS0_EviT3_lT4_lT_li
		.amdhsa_group_segment_fixed_size 0
		.amdhsa_private_segment_fixed_size 0
		.amdhsa_kernarg_size 60
		.amdhsa_user_sgpr_count 2
		.amdhsa_user_sgpr_dispatch_ptr 0
		.amdhsa_user_sgpr_queue_ptr 0
		.amdhsa_user_sgpr_kernarg_segment_ptr 1
		.amdhsa_user_sgpr_dispatch_id 0
		.amdhsa_user_sgpr_kernarg_preload_length 0
		.amdhsa_user_sgpr_kernarg_preload_offset 0
		.amdhsa_user_sgpr_private_segment_size 0
		.amdhsa_wavefront_size32 1
		.amdhsa_uses_dynamic_stack 0
		.amdhsa_enable_private_segment 0
		.amdhsa_system_sgpr_workgroup_id_x 1
		.amdhsa_system_sgpr_workgroup_id_y 0
		.amdhsa_system_sgpr_workgroup_id_z 1
		.amdhsa_system_sgpr_workgroup_info 0
		.amdhsa_system_vgpr_workitem_id 0
		.amdhsa_next_free_vgpr 8
		.amdhsa_next_free_sgpr 20
		.amdhsa_named_barrier_count 0
		.amdhsa_reserve_vcc 1
		.amdhsa_float_round_mode_32 0
		.amdhsa_float_round_mode_16_64 0
		.amdhsa_float_denorm_mode_32 3
		.amdhsa_float_denorm_mode_16_64 3
		.amdhsa_fp16_overflow 0
		.amdhsa_memory_ordered 1
		.amdhsa_forward_progress 1
		.amdhsa_inst_pref_size 4
		.amdhsa_round_robin_scheduling 0
		.amdhsa_exception_fp_ieee_invalid_op 0
		.amdhsa_exception_fp_denorm_src 0
		.amdhsa_exception_fp_ieee_div_zero 0
		.amdhsa_exception_fp_ieee_overflow 0
		.amdhsa_exception_fp_ieee_underflow 0
		.amdhsa_exception_fp_ieee_inexact 0
		.amdhsa_exception_int_div_zero 0
	.end_amdhsa_kernel
	.section	.text._ZL19rocblas_scal_kernelIlLi256E16rocblas_bfloat16fPKS0_PS0_EviT3_lT4_lT_li,"axG",@progbits,_ZL19rocblas_scal_kernelIlLi256E16rocblas_bfloat16fPKS0_PS0_EviT3_lT4_lT_li,comdat
.Lfunc_end92:
	.size	_ZL19rocblas_scal_kernelIlLi256E16rocblas_bfloat16fPKS0_PS0_EviT3_lT4_lT_li, .Lfunc_end92-_ZL19rocblas_scal_kernelIlLi256E16rocblas_bfloat16fPKS0_PS0_EviT3_lT4_lT_li
                                        ; -- End function
	.set _ZL19rocblas_scal_kernelIlLi256E16rocblas_bfloat16fPKS0_PS0_EviT3_lT4_lT_li.num_vgpr, 8
	.set _ZL19rocblas_scal_kernelIlLi256E16rocblas_bfloat16fPKS0_PS0_EviT3_lT4_lT_li.num_agpr, 0
	.set _ZL19rocblas_scal_kernelIlLi256E16rocblas_bfloat16fPKS0_PS0_EviT3_lT4_lT_li.numbered_sgpr, 20
	.set _ZL19rocblas_scal_kernelIlLi256E16rocblas_bfloat16fPKS0_PS0_EviT3_lT4_lT_li.num_named_barrier, 0
	.set _ZL19rocblas_scal_kernelIlLi256E16rocblas_bfloat16fPKS0_PS0_EviT3_lT4_lT_li.private_seg_size, 0
	.set _ZL19rocblas_scal_kernelIlLi256E16rocblas_bfloat16fPKS0_PS0_EviT3_lT4_lT_li.uses_vcc, 1
	.set _ZL19rocblas_scal_kernelIlLi256E16rocblas_bfloat16fPKS0_PS0_EviT3_lT4_lT_li.uses_flat_scratch, 0
	.set _ZL19rocblas_scal_kernelIlLi256E16rocblas_bfloat16fPKS0_PS0_EviT3_lT4_lT_li.has_dyn_sized_stack, 0
	.set _ZL19rocblas_scal_kernelIlLi256E16rocblas_bfloat16fPKS0_PS0_EviT3_lT4_lT_li.has_recursion, 0
	.set _ZL19rocblas_scal_kernelIlLi256E16rocblas_bfloat16fPKS0_PS0_EviT3_lT4_lT_li.has_indirect_call, 0
	.section	.AMDGPU.csdata,"",@progbits
; Kernel info:
; codeLenInByte = 464
; TotalNumSgprs: 22
; NumVgprs: 8
; ScratchSize: 0
; MemoryBound: 0
; FloatMode: 240
; IeeeMode: 1
; LDSByteSize: 0 bytes/workgroup (compile time only)
; SGPRBlocks: 0
; VGPRBlocks: 0
; NumSGPRsForWavesPerEU: 22
; NumVGPRsForWavesPerEU: 8
; NamedBarCnt: 0
; Occupancy: 16
; WaveLimiterHint : 0
; COMPUTE_PGM_RSRC2:SCRATCH_EN: 0
; COMPUTE_PGM_RSRC2:USER_SGPR: 2
; COMPUTE_PGM_RSRC2:TRAP_HANDLER: 0
; COMPUTE_PGM_RSRC2:TGID_X_EN: 1
; COMPUTE_PGM_RSRC2:TGID_Y_EN: 0
; COMPUTE_PGM_RSRC2:TGID_Z_EN: 1
; COMPUTE_PGM_RSRC2:TIDIG_COMP_CNT: 0
	.section	.text._ZL19rocblas_scal_kernelIlLi256E16rocblas_bfloat16fS0_PS0_EviT3_lT4_lT_li,"axG",@progbits,_ZL19rocblas_scal_kernelIlLi256E16rocblas_bfloat16fS0_PS0_EviT3_lT4_lT_li,comdat
	.globl	_ZL19rocblas_scal_kernelIlLi256E16rocblas_bfloat16fS0_PS0_EviT3_lT4_lT_li ; -- Begin function _ZL19rocblas_scal_kernelIlLi256E16rocblas_bfloat16fS0_PS0_EviT3_lT4_lT_li
	.p2align	8
	.type	_ZL19rocblas_scal_kernelIlLi256E16rocblas_bfloat16fS0_PS0_EviT3_lT4_lT_li,@function
_ZL19rocblas_scal_kernelIlLi256E16rocblas_bfloat16fS0_PS0_EviT3_lT4_lT_li: ; @_ZL19rocblas_scal_kernelIlLi256E16rocblas_bfloat16fS0_PS0_EviT3_lT4_lT_li
; %bb.0:
	s_load_b32 s12, s[0:1], 0x30
	s_bfe_u32 s2, ttmp6, 0x40014
	s_lshr_b32 s3, ttmp7, 16
	s_add_co_i32 s2, s2, 1
	s_bfe_u32 s4, ttmp6, 0x40008
	s_mul_i32 s2, s3, s2
	s_getreg_b32 s13, hwreg(HW_REG_IB_STS2, 6, 4)
	s_add_co_i32 s4, s4, s2
	s_cmp_eq_u32 s13, 0
	s_cselect_b32 s2, s3, s4
	s_mov_b32 s3, 0
	s_wait_kmcnt 0x0
	s_cmp_ge_u32 s2, s12
	s_cbranch_scc1 .LBB93_9
; %bb.1:
	s_load_b256 s[4:11], s[0:1], 0x10
	s_bfe_u32 s14, ttmp6, 0x4000c
	s_and_b32 s15, ttmp6, 15
	s_add_co_i32 s14, s14, 1
	v_mov_b32_e32 v1, 0
	s_mul_i32 s14, ttmp9, s14
	s_delay_alu instid0(SALU_CYCLE_1)
	s_add_co_i32 s15, s15, s14
	s_wait_kmcnt 0x0
	s_lshl_b64 s[6:7], s[6:7], 1
	s_cmp_eq_u32 s13, 0
	s_add_nc_u64 s[4:5], s[4:5], s[6:7]
	s_cselect_b32 s13, ttmp9, s15
	s_delay_alu instid0(SALU_CYCLE_1) | instskip(NEXT) | instid1(VALU_DEP_1)
	v_lshl_or_b32 v0, s13, 8, v0
	v_mul_u64_e32 v[2:3], s[8:9], v[0:1]
	s_load_b64 s[8:9], s[0:1], 0x0
	s_wait_kmcnt 0x0
	s_lshl_b32 s0, s9, 16
	v_cmp_gt_u32_e32 vcc_lo, s8, v0
	s_cmp_neq_f32 s0, 1.0
	s_cselect_b32 s1, -1, 0
	s_delay_alu instid0(SALU_CYCLE_1) | instskip(NEXT) | instid1(VALU_DEP_2)
	s_and_b32 s1, vcc_lo, s1
	v_lshl_add_u64 v[0:1], v[2:3], 1, s[4:5]
	s_branch .LBB93_4
.LBB93_2:                               ;   in Loop: Header=BB93_4 Depth=1
	s_or_b32 exec_lo, exec_lo, s5
	global_store_d16_hi_b16 v[2:3], v5, off
.LBB93_3:                               ;   in Loop: Header=BB93_4 Depth=1
	s_wait_xcnt 0x0
	s_or_b32 exec_lo, exec_lo, s4
	s_add_co_i32 s2, s2, 0x10000
	s_delay_alu instid0(SALU_CYCLE_1)
	s_cmp_lt_u32 s2, s12
	s_cbranch_scc0 .LBB93_9
.LBB93_4:                               ; =>This Inner Loop Header: Depth=1
	s_and_saveexec_b32 s4, s1
	s_cbranch_execz .LBB93_3
; %bb.5:                                ;   in Loop: Header=BB93_4 Depth=1
	s_mul_u64 s[6:7], s[10:11], s[2:3]
	s_delay_alu instid0(SALU_CYCLE_1) | instskip(SKIP_3) | instid1(VALU_DEP_1)
	v_lshl_add_u64 v[2:3], s[6:7], 1, v[0:1]
	global_load_u16 v4, v[2:3], off
	s_wait_loadcnt 0x0
	v_lshlrev_b32_e32 v4, 16, v4
	v_mul_f32_e32 v4, s0, v4
	s_delay_alu instid0(VALU_DEP_1) | instskip(NEXT) | instid1(VALU_DEP_1)
	v_and_b32_e32 v5, 0x7f800000, v4
	v_cmp_ne_u32_e32 vcc_lo, 0x7f800000, v5
                                        ; implicit-def: $vgpr5
	s_wait_xcnt 0x0
	s_and_saveexec_b32 s5, vcc_lo
	s_delay_alu instid0(SALU_CYCLE_1)
	s_xor_b32 s5, exec_lo, s5
; %bb.6:                                ;   in Loop: Header=BB93_4 Depth=1
	v_bfe_u32 v5, v4, 16, 1
	s_delay_alu instid0(VALU_DEP_1)
	v_add3_u32 v5, v4, v5, 0x7fff
                                        ; implicit-def: $vgpr4
; %bb.7:                                ;   in Loop: Header=BB93_4 Depth=1
	s_and_not1_saveexec_b32 s5, s5
	s_cbranch_execz .LBB93_2
; %bb.8:                                ;   in Loop: Header=BB93_4 Depth=1
	v_and_b32_e32 v5, 0xffff, v4
	v_or_b32_e32 v6, 0x10000, v4
	s_delay_alu instid0(VALU_DEP_2) | instskip(NEXT) | instid1(VALU_DEP_2)
	v_cmp_eq_u32_e32 vcc_lo, 0, v5
	v_cndmask_b32_e32 v5, v6, v4, vcc_lo
	s_branch .LBB93_2
.LBB93_9:
	s_endpgm
	.section	.rodata,"a",@progbits
	.p2align	6, 0x0
	.amdhsa_kernel _ZL19rocblas_scal_kernelIlLi256E16rocblas_bfloat16fS0_PS0_EviT3_lT4_lT_li
		.amdhsa_group_segment_fixed_size 0
		.amdhsa_private_segment_fixed_size 0
		.amdhsa_kernarg_size 52
		.amdhsa_user_sgpr_count 2
		.amdhsa_user_sgpr_dispatch_ptr 0
		.amdhsa_user_sgpr_queue_ptr 0
		.amdhsa_user_sgpr_kernarg_segment_ptr 1
		.amdhsa_user_sgpr_dispatch_id 0
		.amdhsa_user_sgpr_kernarg_preload_length 0
		.amdhsa_user_sgpr_kernarg_preload_offset 0
		.amdhsa_user_sgpr_private_segment_size 0
		.amdhsa_wavefront_size32 1
		.amdhsa_uses_dynamic_stack 0
		.amdhsa_enable_private_segment 0
		.amdhsa_system_sgpr_workgroup_id_x 1
		.amdhsa_system_sgpr_workgroup_id_y 0
		.amdhsa_system_sgpr_workgroup_id_z 1
		.amdhsa_system_sgpr_workgroup_info 0
		.amdhsa_system_vgpr_workitem_id 0
		.amdhsa_next_free_vgpr 7
		.amdhsa_next_free_sgpr 16
		.amdhsa_named_barrier_count 0
		.amdhsa_reserve_vcc 1
		.amdhsa_float_round_mode_32 0
		.amdhsa_float_round_mode_16_64 0
		.amdhsa_float_denorm_mode_32 3
		.amdhsa_float_denorm_mode_16_64 3
		.amdhsa_fp16_overflow 0
		.amdhsa_memory_ordered 1
		.amdhsa_forward_progress 1
		.amdhsa_inst_pref_size 4
		.amdhsa_round_robin_scheduling 0
		.amdhsa_exception_fp_ieee_invalid_op 0
		.amdhsa_exception_fp_denorm_src 0
		.amdhsa_exception_fp_ieee_div_zero 0
		.amdhsa_exception_fp_ieee_overflow 0
		.amdhsa_exception_fp_ieee_underflow 0
		.amdhsa_exception_fp_ieee_inexact 0
		.amdhsa_exception_int_div_zero 0
	.end_amdhsa_kernel
	.section	.text._ZL19rocblas_scal_kernelIlLi256E16rocblas_bfloat16fS0_PS0_EviT3_lT4_lT_li,"axG",@progbits,_ZL19rocblas_scal_kernelIlLi256E16rocblas_bfloat16fS0_PS0_EviT3_lT4_lT_li,comdat
.Lfunc_end93:
	.size	_ZL19rocblas_scal_kernelIlLi256E16rocblas_bfloat16fS0_PS0_EviT3_lT4_lT_li, .Lfunc_end93-_ZL19rocblas_scal_kernelIlLi256E16rocblas_bfloat16fS0_PS0_EviT3_lT4_lT_li
                                        ; -- End function
	.set _ZL19rocblas_scal_kernelIlLi256E16rocblas_bfloat16fS0_PS0_EviT3_lT4_lT_li.num_vgpr, 7
	.set _ZL19rocblas_scal_kernelIlLi256E16rocblas_bfloat16fS0_PS0_EviT3_lT4_lT_li.num_agpr, 0
	.set _ZL19rocblas_scal_kernelIlLi256E16rocblas_bfloat16fS0_PS0_EviT3_lT4_lT_li.numbered_sgpr, 16
	.set _ZL19rocblas_scal_kernelIlLi256E16rocblas_bfloat16fS0_PS0_EviT3_lT4_lT_li.num_named_barrier, 0
	.set _ZL19rocblas_scal_kernelIlLi256E16rocblas_bfloat16fS0_PS0_EviT3_lT4_lT_li.private_seg_size, 0
	.set _ZL19rocblas_scal_kernelIlLi256E16rocblas_bfloat16fS0_PS0_EviT3_lT4_lT_li.uses_vcc, 1
	.set _ZL19rocblas_scal_kernelIlLi256E16rocblas_bfloat16fS0_PS0_EviT3_lT4_lT_li.uses_flat_scratch, 0
	.set _ZL19rocblas_scal_kernelIlLi256E16rocblas_bfloat16fS0_PS0_EviT3_lT4_lT_li.has_dyn_sized_stack, 0
	.set _ZL19rocblas_scal_kernelIlLi256E16rocblas_bfloat16fS0_PS0_EviT3_lT4_lT_li.has_recursion, 0
	.set _ZL19rocblas_scal_kernelIlLi256E16rocblas_bfloat16fS0_PS0_EviT3_lT4_lT_li.has_indirect_call, 0
	.section	.AMDGPU.csdata,"",@progbits
; Kernel info:
; codeLenInByte = 388
; TotalNumSgprs: 18
; NumVgprs: 7
; ScratchSize: 0
; MemoryBound: 0
; FloatMode: 240
; IeeeMode: 1
; LDSByteSize: 0 bytes/workgroup (compile time only)
; SGPRBlocks: 0
; VGPRBlocks: 0
; NumSGPRsForWavesPerEU: 18
; NumVGPRsForWavesPerEU: 7
; NamedBarCnt: 0
; Occupancy: 16
; WaveLimiterHint : 0
; COMPUTE_PGM_RSRC2:SCRATCH_EN: 0
; COMPUTE_PGM_RSRC2:USER_SGPR: 2
; COMPUTE_PGM_RSRC2:TRAP_HANDLER: 0
; COMPUTE_PGM_RSRC2:TGID_X_EN: 1
; COMPUTE_PGM_RSRC2:TGID_Y_EN: 0
; COMPUTE_PGM_RSRC2:TGID_Z_EN: 1
; COMPUTE_PGM_RSRC2:TIDIG_COMP_CNT: 0
	.section	.text._ZL22rocblas_sscal_2_kernelILi256E16rocblas_bfloat16fPKfPS0_EviT2_lT3_lli,"axG",@progbits,_ZL22rocblas_sscal_2_kernelILi256E16rocblas_bfloat16fPKfPS0_EviT2_lT3_lli,comdat
	.globl	_ZL22rocblas_sscal_2_kernelILi256E16rocblas_bfloat16fPKfPS0_EviT2_lT3_lli ; -- Begin function _ZL22rocblas_sscal_2_kernelILi256E16rocblas_bfloat16fPKfPS0_EviT2_lT3_lli
	.p2align	8
	.type	_ZL22rocblas_sscal_2_kernelILi256E16rocblas_bfloat16fPKfPS0_EviT2_lT3_lli,@function
_ZL22rocblas_sscal_2_kernelILi256E16rocblas_bfloat16fPKfPS0_EviT2_lT3_lli: ; @_ZL22rocblas_sscal_2_kernelILi256E16rocblas_bfloat16fPKfPS0_EviT2_lT3_lli
; %bb.0:
	s_load_b32 s12, s[0:1], 0x30
	s_bfe_u32 s2, ttmp6, 0x40014
	s_lshr_b32 s3, ttmp7, 16
	s_add_co_i32 s2, s2, 1
	s_bfe_u32 s4, ttmp6, 0x40008
	s_mul_i32 s2, s3, s2
	s_getreg_b32 s13, hwreg(HW_REG_IB_STS2, 6, 4)
	s_add_co_i32 s4, s4, s2
	s_cmp_eq_u32 s13, 0
	s_cselect_b32 s2, s3, s4
	s_mov_b32 s3, 0
	s_wait_kmcnt 0x0
	s_cmp_ge_u32 s2, s12
	s_cbranch_scc1 .LBB94_21
; %bb.1:
	s_clause 0x2
	s_load_b128 s[4:7], s[0:1], 0x20
	s_load_b32 s16, s[0:1], 0x0
	s_load_b64 s[14:15], s[0:1], 0x18
	s_bfe_u32 s17, ttmp6, 0x4000c
	s_load_b128 s[8:11], s[0:1], 0x8
	s_add_co_i32 s17, s17, 1
	s_wait_xcnt 0x0
	s_and_b32 s0, ttmp6, 15
	s_mul_i32 s1, ttmp9, s17
	v_lshlrev_b32_e32 v0, 1, v0
	s_add_co_i32 s0, s0, s1
	s_wait_kmcnt 0x0
	s_lshl_b64 s[4:5], s[4:5], 1
	s_cmp_eq_u32 s13, 0
	s_add_nc_u64 s[4:5], s[14:15], s[4:5]
	s_cselect_b32 s0, ttmp9, s0
	s_bitcmp1_b32 s16, 0
	v_lshl_or_b32 v0, s0, 9, v0
	s_cselect_b32 s1, -1, 0
	s_add_co_i32 s0, s16, -1
	s_delay_alu instid0(VALU_DEP_1) | instskip(SKIP_1) | instid1(VALU_DEP_2)
	v_or_b32_e32 v1, 1, v0
	v_cmp_eq_u32_e64 s0, s0, v0
	v_cmp_gt_u32_e32 vcc_lo, s16, v1
	v_mov_b32_e32 v1, 0
	s_and_b32 s1, s1, s0
	s_branch .LBB94_5
.LBB94_2:                               ;   in Loop: Header=BB94_5 Depth=1
	s_or_b32 exec_lo, exec_lo, s13
	global_store_d16_hi_b16 v[2:3], v5, off
.LBB94_3:                               ;   in Loop: Header=BB94_5 Depth=1
	s_wait_xcnt 0x0
	s_or_b32 exec_lo, exec_lo, s14
.LBB94_4:                               ;   in Loop: Header=BB94_5 Depth=1
	s_add_co_i32 s2, s2, 0x10000
	s_delay_alu instid0(SALU_CYCLE_1)
	s_cmp_lt_u32 s2, s12
	s_cbranch_scc0 .LBB94_21
.LBB94_5:                               ; =>This Inner Loop Header: Depth=1
	s_wait_xcnt 0x0
	s_mul_u64 s[14:15], s[10:11], s[2:3]
	s_delay_alu instid0(SALU_CYCLE_1) | instskip(NEXT) | instid1(SALU_CYCLE_1)
	s_lshl_b64 s[14:15], s[14:15], 2
	s_add_nc_u64 s[14:15], s[8:9], s[14:15]
	s_load_b32 s13, s[14:15], 0x0
	s_wait_kmcnt 0x0
	s_cmp_eq_f32 s13, 1.0
	s_cbranch_scc1 .LBB94_4
; %bb.6:                                ;   in Loop: Header=BB94_5 Depth=1
	s_wait_xcnt 0x0
	s_mul_u64 s[14:15], s[6:7], s[2:3]
	s_delay_alu instid0(SALU_CYCLE_1) | instskip(NEXT) | instid1(SALU_CYCLE_1)
	s_lshl_b64 s[14:15], s[14:15], 1
	s_add_nc_u64 s[14:15], s[4:5], s[14:15]
	s_delay_alu instid0(SALU_CYCLE_1)
	v_lshl_add_u64 v[2:3], v[0:1], 1, s[14:15]
	s_and_saveexec_b32 s14, vcc_lo
	s_cbranch_execz .LBB94_16
; %bb.7:                                ;   in Loop: Header=BB94_5 Depth=1
	global_load_u16 v4, v[2:3], off
	s_wait_loadcnt 0x0
	v_lshlrev_b32_e32 v4, 16, v4
	s_delay_alu instid0(VALU_DEP_1) | instskip(NEXT) | instid1(VALU_DEP_1)
	v_mul_f32_e32 v5, s13, v4
	v_and_b32_e32 v4, 0x7f800000, v5
	s_delay_alu instid0(VALU_DEP_1) | instskip(SKIP_2) | instid1(SALU_CYCLE_1)
	v_cmp_ne_u32_e64 s0, 0x7f800000, v4
                                        ; implicit-def: $vgpr4
	s_wait_xcnt 0x0
	s_and_saveexec_b32 s15, s0
	s_xor_b32 s0, exec_lo, s15
; %bb.8:                                ;   in Loop: Header=BB94_5 Depth=1
	v_bfe_u32 v4, v5, 16, 1
	s_delay_alu instid0(VALU_DEP_1)
	v_add3_u32 v4, v5, v4, 0x7fff
                                        ; implicit-def: $vgpr5
; %bb.9:                                ;   in Loop: Header=BB94_5 Depth=1
	s_and_not1_saveexec_b32 s15, s0
; %bb.10:                               ;   in Loop: Header=BB94_5 Depth=1
	v_and_b32_e32 v4, 0xffff, v5
	v_or_b32_e32 v6, 0x10000, v5
	s_delay_alu instid0(VALU_DEP_2) | instskip(NEXT) | instid1(VALU_DEP_1)
	v_cmp_eq_u32_e64 s0, 0, v4
	v_cndmask_b32_e64 v4, v6, v5, s0
; %bb.11:                               ;   in Loop: Header=BB94_5 Depth=1
	s_or_b32 exec_lo, exec_lo, s15
	s_clause 0x1
	global_load_u16 v5, v[2:3], off offset:2
	global_store_d16_hi_b16 v[2:3], v4, off
                                        ; implicit-def: $vgpr4
	s_wait_loadcnt 0x0
	v_lshlrev_b32_e32 v5, 16, v5
	s_delay_alu instid0(VALU_DEP_1) | instskip(NEXT) | instid1(VALU_DEP_1)
	v_mul_f32_e32 v5, s13, v5
	v_and_b32_e32 v6, 0x7f800000, v5
	s_delay_alu instid0(VALU_DEP_1) | instskip(SKIP_2) | instid1(SALU_CYCLE_1)
	v_cmp_ne_u32_e64 s0, 0x7f800000, v6
	s_wait_xcnt 0x0
	s_and_saveexec_b32 s15, s0
	s_xor_b32 s0, exec_lo, s15
; %bb.12:                               ;   in Loop: Header=BB94_5 Depth=1
	v_bfe_u32 v4, v5, 16, 1
	s_delay_alu instid0(VALU_DEP_1)
	v_add3_u32 v4, v5, v4, 0x7fff
                                        ; implicit-def: $vgpr5
; %bb.13:                               ;   in Loop: Header=BB94_5 Depth=1
	s_and_not1_saveexec_b32 s15, s0
; %bb.14:                               ;   in Loop: Header=BB94_5 Depth=1
	v_and_b32_e32 v4, 0xffff, v5
	v_or_b32_e32 v6, 0x10000, v5
	s_delay_alu instid0(VALU_DEP_2) | instskip(NEXT) | instid1(VALU_DEP_1)
	v_cmp_eq_u32_e64 s0, 0, v4
	v_cndmask_b32_e64 v4, v6, v5, s0
; %bb.15:                               ;   in Loop: Header=BB94_5 Depth=1
	s_or_b32 exec_lo, exec_lo, s15
	global_store_d16_hi_b16 v[2:3], v4, off offset:2
.LBB94_16:                              ;   in Loop: Header=BB94_5 Depth=1
	s_wait_xcnt 0x0
	s_or_b32 exec_lo, exec_lo, s14
	s_and_saveexec_b32 s14, s1
	s_cbranch_execz .LBB94_3
; %bb.17:                               ;   in Loop: Header=BB94_5 Depth=1
	global_load_u16 v4, v[2:3], off
	s_wait_loadcnt 0x0
	v_lshlrev_b32_e32 v4, 16, v4
	s_delay_alu instid0(VALU_DEP_1) | instskip(NEXT) | instid1(VALU_DEP_1)
	v_mul_f32_e32 v4, s13, v4
	v_and_b32_e32 v5, 0x7f800000, v4
	s_delay_alu instid0(VALU_DEP_1) | instskip(SKIP_2) | instid1(SALU_CYCLE_1)
	v_cmp_ne_u32_e64 s0, 0x7f800000, v5
                                        ; implicit-def: $vgpr5
	s_wait_xcnt 0x0
	s_and_saveexec_b32 s13, s0
	s_xor_b32 s0, exec_lo, s13
; %bb.18:                               ;   in Loop: Header=BB94_5 Depth=1
	v_bfe_u32 v5, v4, 16, 1
	s_delay_alu instid0(VALU_DEP_1)
	v_add3_u32 v5, v4, v5, 0x7fff
                                        ; implicit-def: $vgpr4
; %bb.19:                               ;   in Loop: Header=BB94_5 Depth=1
	s_and_not1_saveexec_b32 s13, s0
	s_cbranch_execz .LBB94_2
; %bb.20:                               ;   in Loop: Header=BB94_5 Depth=1
	v_and_b32_e32 v5, 0xffff, v4
	v_or_b32_e32 v6, 0x10000, v4
	s_delay_alu instid0(VALU_DEP_2) | instskip(NEXT) | instid1(VALU_DEP_1)
	v_cmp_eq_u32_e64 s0, 0, v5
	v_cndmask_b32_e64 v5, v6, v4, s0
	s_branch .LBB94_2
.LBB94_21:
	s_endpgm
	.section	.rodata,"a",@progbits
	.p2align	6, 0x0
	.amdhsa_kernel _ZL22rocblas_sscal_2_kernelILi256E16rocblas_bfloat16fPKfPS0_EviT2_lT3_lli
		.amdhsa_group_segment_fixed_size 0
		.amdhsa_private_segment_fixed_size 0
		.amdhsa_kernarg_size 52
		.amdhsa_user_sgpr_count 2
		.amdhsa_user_sgpr_dispatch_ptr 0
		.amdhsa_user_sgpr_queue_ptr 0
		.amdhsa_user_sgpr_kernarg_segment_ptr 1
		.amdhsa_user_sgpr_dispatch_id 0
		.amdhsa_user_sgpr_kernarg_preload_length 0
		.amdhsa_user_sgpr_kernarg_preload_offset 0
		.amdhsa_user_sgpr_private_segment_size 0
		.amdhsa_wavefront_size32 1
		.amdhsa_uses_dynamic_stack 0
		.amdhsa_enable_private_segment 0
		.amdhsa_system_sgpr_workgroup_id_x 1
		.amdhsa_system_sgpr_workgroup_id_y 0
		.amdhsa_system_sgpr_workgroup_id_z 1
		.amdhsa_system_sgpr_workgroup_info 0
		.amdhsa_system_vgpr_workitem_id 0
		.amdhsa_next_free_vgpr 7
		.amdhsa_next_free_sgpr 18
		.amdhsa_named_barrier_count 0
		.amdhsa_reserve_vcc 1
		.amdhsa_float_round_mode_32 0
		.amdhsa_float_round_mode_16_64 0
		.amdhsa_float_denorm_mode_32 3
		.amdhsa_float_denorm_mode_16_64 3
		.amdhsa_fp16_overflow 0
		.amdhsa_memory_ordered 1
		.amdhsa_forward_progress 1
		.amdhsa_inst_pref_size 7
		.amdhsa_round_robin_scheduling 0
		.amdhsa_exception_fp_ieee_invalid_op 0
		.amdhsa_exception_fp_denorm_src 0
		.amdhsa_exception_fp_ieee_div_zero 0
		.amdhsa_exception_fp_ieee_overflow 0
		.amdhsa_exception_fp_ieee_underflow 0
		.amdhsa_exception_fp_ieee_inexact 0
		.amdhsa_exception_int_div_zero 0
	.end_amdhsa_kernel
	.section	.text._ZL22rocblas_sscal_2_kernelILi256E16rocblas_bfloat16fPKfPS0_EviT2_lT3_lli,"axG",@progbits,_ZL22rocblas_sscal_2_kernelILi256E16rocblas_bfloat16fPKfPS0_EviT2_lT3_lli,comdat
.Lfunc_end94:
	.size	_ZL22rocblas_sscal_2_kernelILi256E16rocblas_bfloat16fPKfPS0_EviT2_lT3_lli, .Lfunc_end94-_ZL22rocblas_sscal_2_kernelILi256E16rocblas_bfloat16fPKfPS0_EviT2_lT3_lli
                                        ; -- End function
	.set _ZL22rocblas_sscal_2_kernelILi256E16rocblas_bfloat16fPKfPS0_EviT2_lT3_lli.num_vgpr, 7
	.set _ZL22rocblas_sscal_2_kernelILi256E16rocblas_bfloat16fPKfPS0_EviT2_lT3_lli.num_agpr, 0
	.set _ZL22rocblas_sscal_2_kernelILi256E16rocblas_bfloat16fPKfPS0_EviT2_lT3_lli.numbered_sgpr, 18
	.set _ZL22rocblas_sscal_2_kernelILi256E16rocblas_bfloat16fPKfPS0_EviT2_lT3_lli.num_named_barrier, 0
	.set _ZL22rocblas_sscal_2_kernelILi256E16rocblas_bfloat16fPKfPS0_EviT2_lT3_lli.private_seg_size, 0
	.set _ZL22rocblas_sscal_2_kernelILi256E16rocblas_bfloat16fPKfPS0_EviT2_lT3_lli.uses_vcc, 1
	.set _ZL22rocblas_sscal_2_kernelILi256E16rocblas_bfloat16fPKfPS0_EviT2_lT3_lli.uses_flat_scratch, 0
	.set _ZL22rocblas_sscal_2_kernelILi256E16rocblas_bfloat16fPKfPS0_EviT2_lT3_lli.has_dyn_sized_stack, 0
	.set _ZL22rocblas_sscal_2_kernelILi256E16rocblas_bfloat16fPKfPS0_EviT2_lT3_lli.has_recursion, 0
	.set _ZL22rocblas_sscal_2_kernelILi256E16rocblas_bfloat16fPKfPS0_EviT2_lT3_lli.has_indirect_call, 0
	.section	.AMDGPU.csdata,"",@progbits
; Kernel info:
; codeLenInByte = 780
; TotalNumSgprs: 20
; NumVgprs: 7
; ScratchSize: 0
; MemoryBound: 0
; FloatMode: 240
; IeeeMode: 1
; LDSByteSize: 0 bytes/workgroup (compile time only)
; SGPRBlocks: 0
; VGPRBlocks: 0
; NumSGPRsForWavesPerEU: 20
; NumVGPRsForWavesPerEU: 7
; NamedBarCnt: 0
; Occupancy: 16
; WaveLimiterHint : 0
; COMPUTE_PGM_RSRC2:SCRATCH_EN: 0
; COMPUTE_PGM_RSRC2:USER_SGPR: 2
; COMPUTE_PGM_RSRC2:TRAP_HANDLER: 0
; COMPUTE_PGM_RSRC2:TGID_X_EN: 1
; COMPUTE_PGM_RSRC2:TGID_Y_EN: 0
; COMPUTE_PGM_RSRC2:TGID_Z_EN: 1
; COMPUTE_PGM_RSRC2:TIDIG_COMP_CNT: 0
	.section	.text._ZL22rocblas_sscal_2_kernelILi256E16rocblas_bfloat16ffPS0_EviT2_lT3_lli,"axG",@progbits,_ZL22rocblas_sscal_2_kernelILi256E16rocblas_bfloat16ffPS0_EviT2_lT3_lli,comdat
	.globl	_ZL22rocblas_sscal_2_kernelILi256E16rocblas_bfloat16ffPS0_EviT2_lT3_lli ; -- Begin function _ZL22rocblas_sscal_2_kernelILi256E16rocblas_bfloat16ffPS0_EviT2_lT3_lli
	.p2align	8
	.type	_ZL22rocblas_sscal_2_kernelILi256E16rocblas_bfloat16ffPS0_EviT2_lT3_lli,@function
_ZL22rocblas_sscal_2_kernelILi256E16rocblas_bfloat16ffPS0_EviT2_lT3_lli: ; @_ZL22rocblas_sscal_2_kernelILi256E16rocblas_bfloat16ffPS0_EviT2_lT3_lli
; %bb.0:
	s_load_b32 s10, s[0:1], 0x28
	s_bfe_u32 s2, ttmp6, 0x40014
	s_lshr_b32 s3, ttmp7, 16
	s_add_co_i32 s2, s2, 1
	s_bfe_u32 s4, ttmp6, 0x40008
	s_mul_i32 s2, s3, s2
	s_getreg_b32 s11, hwreg(HW_REG_IB_STS2, 6, 4)
	s_add_co_i32 s4, s4, s2
	s_cmp_eq_u32 s11, 0
	s_cselect_b32 s2, s3, s4
	s_mov_b32 s3, 0
	s_wait_kmcnt 0x0
	s_cmp_ge_u32 s2, s10
	s_cbranch_scc1 .LBB95_21
; %bb.1:
	s_clause 0x1
	s_load_b128 s[4:7], s[0:1], 0x18
	s_load_b64 s[8:9], s[0:1], 0x0
	s_bfe_u32 s14, ttmp6, 0x4000c
	s_load_b64 s[12:13], s[0:1], 0x10
	s_add_co_i32 s14, s14, 1
	s_wait_xcnt 0x0
	s_and_b32 s0, ttmp6, 15
	s_mul_i32 s1, ttmp9, s14
	v_dual_mov_b32 v1, 0 :: v_dual_lshlrev_b32 v0, 1, v0
	s_add_co_i32 s0, s0, s1
	s_wait_kmcnt 0x0
	s_lshl_b64 s[4:5], s[4:5], 1
	s_cmp_eq_u32 s11, 0
	s_add_nc_u64 s[4:5], s[12:13], s[4:5]
	s_cselect_b32 s0, ttmp9, s0
	s_cmp_neq_f32 s9, 1.0
	v_lshl_or_b32 v0, s0, 9, v0
	s_cselect_b32 s1, -1, 0
	s_bitcmp1_b32 s8, 0
	s_delay_alu instid0(VALU_DEP_1) | instskip(SKIP_2) | instid1(SALU_CYCLE_1)
	v_or_b32_e32 v2, 1, v0
	s_cselect_b32 s11, -1, 0
	s_add_co_i32 s0, s8, -1
	v_cmp_eq_u32_e32 vcc_lo, s0, v0
	s_delay_alu instid0(VALU_DEP_2)
	v_cmp_gt_u32_e64 s0, s8, v2
	s_and_b32 s8, s11, vcc_lo
	s_branch .LBB95_5
.LBB95_2:                               ;   in Loop: Header=BB95_5 Depth=1
	s_or_b32 exec_lo, exec_lo, s12
	global_store_d16_hi_b16 v[2:3], v5, off
.LBB95_3:                               ;   in Loop: Header=BB95_5 Depth=1
	s_wait_xcnt 0x0
	s_or_b32 exec_lo, exec_lo, s11
.LBB95_4:                               ;   in Loop: Header=BB95_5 Depth=1
	s_add_co_i32 s2, s2, 0x10000
	s_delay_alu instid0(SALU_CYCLE_1)
	s_cmp_lt_u32 s2, s10
	s_cbranch_scc0 .LBB95_21
.LBB95_5:                               ; =>This Inner Loop Header: Depth=1
	s_and_not1_b32 vcc_lo, exec_lo, s1
	s_cbranch_vccnz .LBB95_4
; %bb.6:                                ;   in Loop: Header=BB95_5 Depth=1
	s_mul_u64 s[12:13], s[6:7], s[2:3]
	s_delay_alu instid0(SALU_CYCLE_1) | instskip(NEXT) | instid1(SALU_CYCLE_1)
	s_lshl_b64 s[12:13], s[12:13], 1
	s_add_nc_u64 s[12:13], s[4:5], s[12:13]
	s_delay_alu instid0(SALU_CYCLE_1)
	v_lshl_add_u64 v[2:3], v[0:1], 1, s[12:13]
	s_and_saveexec_b32 s11, s0
	s_cbranch_execz .LBB95_16
; %bb.7:                                ;   in Loop: Header=BB95_5 Depth=1
	global_load_u16 v4, v[2:3], off
	s_wait_loadcnt 0x0
	v_lshlrev_b32_e32 v4, 16, v4
	s_delay_alu instid0(VALU_DEP_1) | instskip(NEXT) | instid1(VALU_DEP_1)
	v_mul_f32_e32 v5, s9, v4
	v_and_b32_e32 v4, 0x7f800000, v5
	s_delay_alu instid0(VALU_DEP_1) | instskip(SKIP_2) | instid1(SALU_CYCLE_1)
	v_cmp_ne_u32_e32 vcc_lo, 0x7f800000, v4
                                        ; implicit-def: $vgpr4
	s_wait_xcnt 0x0
	s_and_saveexec_b32 s12, vcc_lo
	s_xor_b32 s12, exec_lo, s12
; %bb.8:                                ;   in Loop: Header=BB95_5 Depth=1
	v_bfe_u32 v4, v5, 16, 1
	s_delay_alu instid0(VALU_DEP_1)
	v_add3_u32 v4, v5, v4, 0x7fff
                                        ; implicit-def: $vgpr5
; %bb.9:                                ;   in Loop: Header=BB95_5 Depth=1
	s_and_not1_saveexec_b32 s12, s12
; %bb.10:                               ;   in Loop: Header=BB95_5 Depth=1
	v_and_b32_e32 v4, 0xffff, v5
	v_or_b32_e32 v6, 0x10000, v5
	s_delay_alu instid0(VALU_DEP_2) | instskip(NEXT) | instid1(VALU_DEP_2)
	v_cmp_eq_u32_e32 vcc_lo, 0, v4
	v_cndmask_b32_e32 v4, v6, v5, vcc_lo
; %bb.11:                               ;   in Loop: Header=BB95_5 Depth=1
	s_or_b32 exec_lo, exec_lo, s12
	global_load_u16 v5, v[2:3], off offset:2
	s_mov_b32 s12, exec_lo
	global_store_d16_hi_b16 v[2:3], v4, off
                                        ; implicit-def: $vgpr4
	s_wait_loadcnt 0x0
	v_lshlrev_b32_e32 v5, 16, v5
	s_delay_alu instid0(VALU_DEP_1) | instskip(NEXT) | instid1(VALU_DEP_1)
	v_mul_f32_e32 v5, s9, v5
	v_and_b32_e32 v6, 0x7f800000, v5
	s_wait_xcnt 0x0
	s_delay_alu instid0(VALU_DEP_1)
	v_cmpx_ne_u32_e32 0x7f800000, v6
	s_xor_b32 s12, exec_lo, s12
; %bb.12:                               ;   in Loop: Header=BB95_5 Depth=1
	v_bfe_u32 v4, v5, 16, 1
	s_delay_alu instid0(VALU_DEP_1)
	v_add3_u32 v4, v5, v4, 0x7fff
                                        ; implicit-def: $vgpr5
; %bb.13:                               ;   in Loop: Header=BB95_5 Depth=1
	s_and_not1_saveexec_b32 s12, s12
; %bb.14:                               ;   in Loop: Header=BB95_5 Depth=1
	v_and_b32_e32 v4, 0xffff, v5
	v_or_b32_e32 v6, 0x10000, v5
	s_delay_alu instid0(VALU_DEP_2) | instskip(NEXT) | instid1(VALU_DEP_2)
	v_cmp_eq_u32_e32 vcc_lo, 0, v4
	v_cndmask_b32_e32 v4, v6, v5, vcc_lo
; %bb.15:                               ;   in Loop: Header=BB95_5 Depth=1
	s_or_b32 exec_lo, exec_lo, s12
	global_store_d16_hi_b16 v[2:3], v4, off offset:2
.LBB95_16:                              ;   in Loop: Header=BB95_5 Depth=1
	s_wait_xcnt 0x0
	s_or_b32 exec_lo, exec_lo, s11
	s_and_saveexec_b32 s11, s8
	s_cbranch_execz .LBB95_3
; %bb.17:                               ;   in Loop: Header=BB95_5 Depth=1
	global_load_u16 v4, v[2:3], off
	s_wait_loadcnt 0x0
	v_lshlrev_b32_e32 v4, 16, v4
	s_delay_alu instid0(VALU_DEP_1) | instskip(NEXT) | instid1(VALU_DEP_1)
	v_mul_f32_e32 v4, s9, v4
	v_and_b32_e32 v5, 0x7f800000, v4
	s_delay_alu instid0(VALU_DEP_1) | instskip(SKIP_2) | instid1(SALU_CYCLE_1)
	v_cmp_ne_u32_e32 vcc_lo, 0x7f800000, v5
                                        ; implicit-def: $vgpr5
	s_wait_xcnt 0x0
	s_and_saveexec_b32 s12, vcc_lo
	s_xor_b32 s12, exec_lo, s12
; %bb.18:                               ;   in Loop: Header=BB95_5 Depth=1
	v_bfe_u32 v5, v4, 16, 1
	s_delay_alu instid0(VALU_DEP_1)
	v_add3_u32 v5, v4, v5, 0x7fff
                                        ; implicit-def: $vgpr4
; %bb.19:                               ;   in Loop: Header=BB95_5 Depth=1
	s_and_not1_saveexec_b32 s12, s12
	s_cbranch_execz .LBB95_2
; %bb.20:                               ;   in Loop: Header=BB95_5 Depth=1
	v_and_b32_e32 v5, 0xffff, v4
	v_or_b32_e32 v6, 0x10000, v4
	s_delay_alu instid0(VALU_DEP_2) | instskip(NEXT) | instid1(VALU_DEP_2)
	v_cmp_eq_u32_e32 vcc_lo, 0, v5
	v_cndmask_b32_e32 v5, v6, v4, vcc_lo
	s_branch .LBB95_2
.LBB95_21:
	s_endpgm
	.section	.rodata,"a",@progbits
	.p2align	6, 0x0
	.amdhsa_kernel _ZL22rocblas_sscal_2_kernelILi256E16rocblas_bfloat16ffPS0_EviT2_lT3_lli
		.amdhsa_group_segment_fixed_size 0
		.amdhsa_private_segment_fixed_size 0
		.amdhsa_kernarg_size 44
		.amdhsa_user_sgpr_count 2
		.amdhsa_user_sgpr_dispatch_ptr 0
		.amdhsa_user_sgpr_queue_ptr 0
		.amdhsa_user_sgpr_kernarg_segment_ptr 1
		.amdhsa_user_sgpr_dispatch_id 0
		.amdhsa_user_sgpr_kernarg_preload_length 0
		.amdhsa_user_sgpr_kernarg_preload_offset 0
		.amdhsa_user_sgpr_private_segment_size 0
		.amdhsa_wavefront_size32 1
		.amdhsa_uses_dynamic_stack 0
		.amdhsa_enable_private_segment 0
		.amdhsa_system_sgpr_workgroup_id_x 1
		.amdhsa_system_sgpr_workgroup_id_y 0
		.amdhsa_system_sgpr_workgroup_id_z 1
		.amdhsa_system_sgpr_workgroup_info 0
		.amdhsa_system_vgpr_workitem_id 0
		.amdhsa_next_free_vgpr 7
		.amdhsa_next_free_sgpr 15
		.amdhsa_named_barrier_count 0
		.amdhsa_reserve_vcc 1
		.amdhsa_float_round_mode_32 0
		.amdhsa_float_round_mode_16_64 0
		.amdhsa_float_denorm_mode_32 3
		.amdhsa_float_denorm_mode_16_64 3
		.amdhsa_fp16_overflow 0
		.amdhsa_memory_ordered 1
		.amdhsa_forward_progress 1
		.amdhsa_inst_pref_size 6
		.amdhsa_round_robin_scheduling 0
		.amdhsa_exception_fp_ieee_invalid_op 0
		.amdhsa_exception_fp_denorm_src 0
		.amdhsa_exception_fp_ieee_div_zero 0
		.amdhsa_exception_fp_ieee_overflow 0
		.amdhsa_exception_fp_ieee_underflow 0
		.amdhsa_exception_fp_ieee_inexact 0
		.amdhsa_exception_int_div_zero 0
	.end_amdhsa_kernel
	.section	.text._ZL22rocblas_sscal_2_kernelILi256E16rocblas_bfloat16ffPS0_EviT2_lT3_lli,"axG",@progbits,_ZL22rocblas_sscal_2_kernelILi256E16rocblas_bfloat16ffPS0_EviT2_lT3_lli,comdat
.Lfunc_end95:
	.size	_ZL22rocblas_sscal_2_kernelILi256E16rocblas_bfloat16ffPS0_EviT2_lT3_lli, .Lfunc_end95-_ZL22rocblas_sscal_2_kernelILi256E16rocblas_bfloat16ffPS0_EviT2_lT3_lli
                                        ; -- End function
	.set _ZL22rocblas_sscal_2_kernelILi256E16rocblas_bfloat16ffPS0_EviT2_lT3_lli.num_vgpr, 7
	.set _ZL22rocblas_sscal_2_kernelILi256E16rocblas_bfloat16ffPS0_EviT2_lT3_lli.num_agpr, 0
	.set _ZL22rocblas_sscal_2_kernelILi256E16rocblas_bfloat16ffPS0_EviT2_lT3_lli.numbered_sgpr, 15
	.set _ZL22rocblas_sscal_2_kernelILi256E16rocblas_bfloat16ffPS0_EviT2_lT3_lli.num_named_barrier, 0
	.set _ZL22rocblas_sscal_2_kernelILi256E16rocblas_bfloat16ffPS0_EviT2_lT3_lli.private_seg_size, 0
	.set _ZL22rocblas_sscal_2_kernelILi256E16rocblas_bfloat16ffPS0_EviT2_lT3_lli.uses_vcc, 1
	.set _ZL22rocblas_sscal_2_kernelILi256E16rocblas_bfloat16ffPS0_EviT2_lT3_lli.uses_flat_scratch, 0
	.set _ZL22rocblas_sscal_2_kernelILi256E16rocblas_bfloat16ffPS0_EviT2_lT3_lli.has_dyn_sized_stack, 0
	.set _ZL22rocblas_sscal_2_kernelILi256E16rocblas_bfloat16ffPS0_EviT2_lT3_lli.has_recursion, 0
	.set _ZL22rocblas_sscal_2_kernelILi256E16rocblas_bfloat16ffPS0_EviT2_lT3_lli.has_indirect_call, 0
	.section	.AMDGPU.csdata,"",@progbits
; Kernel info:
; codeLenInByte = 708
; TotalNumSgprs: 17
; NumVgprs: 7
; ScratchSize: 0
; MemoryBound: 0
; FloatMode: 240
; IeeeMode: 1
; LDSByteSize: 0 bytes/workgroup (compile time only)
; SGPRBlocks: 0
; VGPRBlocks: 0
; NumSGPRsForWavesPerEU: 17
; NumVGPRsForWavesPerEU: 7
; NamedBarCnt: 0
; Occupancy: 16
; WaveLimiterHint : 0
; COMPUTE_PGM_RSRC2:SCRATCH_EN: 0
; COMPUTE_PGM_RSRC2:USER_SGPR: 2
; COMPUTE_PGM_RSRC2:TRAP_HANDLER: 0
; COMPUTE_PGM_RSRC2:TGID_X_EN: 1
; COMPUTE_PGM_RSRC2:TGID_Y_EN: 0
; COMPUTE_PGM_RSRC2:TGID_Z_EN: 1
; COMPUTE_PGM_RSRC2:TIDIG_COMP_CNT: 0
	.section	.text._ZL19rocblas_scal_kernelIiLi256E16rocblas_bfloat16fPKfPS0_EviT3_lT4_lT_li,"axG",@progbits,_ZL19rocblas_scal_kernelIiLi256E16rocblas_bfloat16fPKfPS0_EviT3_lT4_lT_li,comdat
	.globl	_ZL19rocblas_scal_kernelIiLi256E16rocblas_bfloat16fPKfPS0_EviT3_lT4_lT_li ; -- Begin function _ZL19rocblas_scal_kernelIiLi256E16rocblas_bfloat16fPKfPS0_EviT3_lT4_lT_li
	.p2align	8
	.type	_ZL19rocblas_scal_kernelIiLi256E16rocblas_bfloat16fPKfPS0_EviT3_lT4_lT_li,@function
_ZL19rocblas_scal_kernelIiLi256E16rocblas_bfloat16fPKfPS0_EviT3_lT4_lT_li: ; @_ZL19rocblas_scal_kernelIiLi256E16rocblas_bfloat16fPKfPS0_EviT3_lT4_lT_li
; %bb.0:
	s_load_b32 s14, s[0:1], 0x38
	s_bfe_u32 s2, ttmp6, 0x40014
	s_lshr_b32 s3, ttmp7, 16
	s_add_co_i32 s2, s2, 1
	s_bfe_u32 s4, ttmp6, 0x40008
	s_mul_i32 s2, s3, s2
	s_getreg_b32 s15, hwreg(HW_REG_IB_STS2, 6, 4)
	s_add_co_i32 s4, s4, s2
	s_cmp_eq_u32 s15, 0
	s_cselect_b32 s2, s3, s4
	s_mov_b32 s3, 0
	s_wait_kmcnt 0x0
	s_cmp_ge_u32 s2, s14
	s_cbranch_scc1 .LBB96_9
; %bb.1:
	s_clause 0x1
	s_load_b32 s16, s[0:1], 0x28
	s_load_b256 s[4:11], s[0:1], 0x8
	s_bfe_u32 s12, ttmp6, 0x4000c
	s_and_b32 s17, ttmp6, 15
	s_add_co_i32 s12, s12, 1
	v_mov_b32_e32 v1, 0
	s_mul_i32 s18, ttmp9, s12
	s_load_b64 s[12:13], s[0:1], 0x30
	s_add_co_i32 s18, s17, s18
	s_wait_kmcnt 0x0
	s_ashr_i32 s17, s16, 31
	s_lshl_b64 s[10:11], s[10:11], 1
	s_cmp_eq_u32 s15, 0
	s_cselect_b32 s15, ttmp9, s18
	s_delay_alu instid0(SALU_CYCLE_1) | instskip(SKIP_3) | instid1(VALU_DEP_1)
	v_lshl_or_b32 v0, s15, 8, v0
	s_load_b32 s15, s[0:1], 0x0
	s_wait_xcnt 0x0
	s_add_nc_u64 s[0:1], s[8:9], s[10:11]
	v_mul_u64_e32 v[2:3], s[16:17], v[0:1]
	s_wait_kmcnt 0x0
	v_cmp_gt_u32_e32 vcc_lo, s15, v0
	s_delay_alu instid0(VALU_DEP_2)
	v_lshl_add_u64 v[0:1], v[2:3], 1, s[0:1]
	s_branch .LBB96_4
.LBB96_2:                               ;   in Loop: Header=BB96_4 Depth=1
	s_or_b32 exec_lo, exec_lo, s8
	global_store_d16_hi_b16 v[2:3], v5, off
.LBB96_3:                               ;   in Loop: Header=BB96_4 Depth=1
	s_wait_xcnt 0x0
	s_or_b32 exec_lo, exec_lo, s1
	s_add_co_i32 s2, s2, 0x10000
	s_delay_alu instid0(SALU_CYCLE_1)
	s_cmp_lt_u32 s2, s14
	s_cbranch_scc0 .LBB96_9
.LBB96_4:                               ; =>This Inner Loop Header: Depth=1
	s_mul_u64 s[0:1], s[6:7], s[2:3]
	s_delay_alu instid0(SALU_CYCLE_1) | instskip(NEXT) | instid1(SALU_CYCLE_1)
	s_lshl_b64 s[0:1], s[0:1], 2
	s_add_nc_u64 s[0:1], s[4:5], s[0:1]
	s_load_b32 s0, s[0:1], 0x0
	s_wait_kmcnt 0x0
	s_cmp_neq_f32 s0, 1.0
	s_wait_xcnt 0x0
	s_cselect_b32 s1, -1, 0
	s_delay_alu instid0(SALU_CYCLE_1) | instskip(NEXT) | instid1(SALU_CYCLE_1)
	s_and_b32 s8, vcc_lo, s1
	s_and_saveexec_b32 s1, s8
	s_cbranch_execz .LBB96_3
; %bb.5:                                ;   in Loop: Header=BB96_4 Depth=1
	s_mul_u64 s[8:9], s[12:13], s[2:3]
	s_delay_alu instid0(SALU_CYCLE_1) | instskip(SKIP_3) | instid1(VALU_DEP_1)
	v_lshl_add_u64 v[2:3], s[8:9], 1, v[0:1]
	global_load_u16 v4, v[2:3], off
	s_wait_loadcnt 0x0
	v_lshlrev_b32_e32 v4, 16, v4
	v_mul_f32_e32 v4, s0, v4
	s_delay_alu instid0(VALU_DEP_1) | instskip(NEXT) | instid1(VALU_DEP_1)
	v_and_b32_e32 v5, 0x7f800000, v4
	v_cmp_ne_u32_e64 s0, 0x7f800000, v5
                                        ; implicit-def: $vgpr5
	s_wait_xcnt 0x0
	s_and_saveexec_b32 s8, s0
	s_delay_alu instid0(SALU_CYCLE_1)
	s_xor_b32 s0, exec_lo, s8
; %bb.6:                                ;   in Loop: Header=BB96_4 Depth=1
	v_bfe_u32 v5, v4, 16, 1
	s_delay_alu instid0(VALU_DEP_1)
	v_add3_u32 v5, v4, v5, 0x7fff
                                        ; implicit-def: $vgpr4
; %bb.7:                                ;   in Loop: Header=BB96_4 Depth=1
	s_and_not1_saveexec_b32 s8, s0
	s_cbranch_execz .LBB96_2
; %bb.8:                                ;   in Loop: Header=BB96_4 Depth=1
	v_and_b32_e32 v5, 0xffff, v4
	v_or_b32_e32 v6, 0x10000, v4
	s_delay_alu instid0(VALU_DEP_2) | instskip(NEXT) | instid1(VALU_DEP_1)
	v_cmp_eq_u32_e64 s0, 0, v5
	v_cndmask_b32_e64 v5, v6, v4, s0
	s_branch .LBB96_2
.LBB96_9:
	s_endpgm
	.section	.rodata,"a",@progbits
	.p2align	6, 0x0
	.amdhsa_kernel _ZL19rocblas_scal_kernelIiLi256E16rocblas_bfloat16fPKfPS0_EviT3_lT4_lT_li
		.amdhsa_group_segment_fixed_size 0
		.amdhsa_private_segment_fixed_size 0
		.amdhsa_kernarg_size 60
		.amdhsa_user_sgpr_count 2
		.amdhsa_user_sgpr_dispatch_ptr 0
		.amdhsa_user_sgpr_queue_ptr 0
		.amdhsa_user_sgpr_kernarg_segment_ptr 1
		.amdhsa_user_sgpr_dispatch_id 0
		.amdhsa_user_sgpr_kernarg_preload_length 0
		.amdhsa_user_sgpr_kernarg_preload_offset 0
		.amdhsa_user_sgpr_private_segment_size 0
		.amdhsa_wavefront_size32 1
		.amdhsa_uses_dynamic_stack 0
		.amdhsa_enable_private_segment 0
		.amdhsa_system_sgpr_workgroup_id_x 1
		.amdhsa_system_sgpr_workgroup_id_y 0
		.amdhsa_system_sgpr_workgroup_id_z 1
		.amdhsa_system_sgpr_workgroup_info 0
		.amdhsa_system_vgpr_workitem_id 0
		.amdhsa_next_free_vgpr 7
		.amdhsa_next_free_sgpr 19
		.amdhsa_named_barrier_count 0
		.amdhsa_reserve_vcc 1
		.amdhsa_float_round_mode_32 0
		.amdhsa_float_round_mode_16_64 0
		.amdhsa_float_denorm_mode_32 3
		.amdhsa_float_denorm_mode_16_64 3
		.amdhsa_fp16_overflow 0
		.amdhsa_memory_ordered 1
		.amdhsa_forward_progress 1
		.amdhsa_inst_pref_size 4
		.amdhsa_round_robin_scheduling 0
		.amdhsa_exception_fp_ieee_invalid_op 0
		.amdhsa_exception_fp_denorm_src 0
		.amdhsa_exception_fp_ieee_div_zero 0
		.amdhsa_exception_fp_ieee_overflow 0
		.amdhsa_exception_fp_ieee_underflow 0
		.amdhsa_exception_fp_ieee_inexact 0
		.amdhsa_exception_int_div_zero 0
	.end_amdhsa_kernel
	.section	.text._ZL19rocblas_scal_kernelIiLi256E16rocblas_bfloat16fPKfPS0_EviT3_lT4_lT_li,"axG",@progbits,_ZL19rocblas_scal_kernelIiLi256E16rocblas_bfloat16fPKfPS0_EviT3_lT4_lT_li,comdat
.Lfunc_end96:
	.size	_ZL19rocblas_scal_kernelIiLi256E16rocblas_bfloat16fPKfPS0_EviT3_lT4_lT_li, .Lfunc_end96-_ZL19rocblas_scal_kernelIiLi256E16rocblas_bfloat16fPKfPS0_EviT3_lT4_lT_li
                                        ; -- End function
	.set _ZL19rocblas_scal_kernelIiLi256E16rocblas_bfloat16fPKfPS0_EviT3_lT4_lT_li.num_vgpr, 7
	.set _ZL19rocblas_scal_kernelIiLi256E16rocblas_bfloat16fPKfPS0_EviT3_lT4_lT_li.num_agpr, 0
	.set _ZL19rocblas_scal_kernelIiLi256E16rocblas_bfloat16fPKfPS0_EviT3_lT4_lT_li.numbered_sgpr, 19
	.set _ZL19rocblas_scal_kernelIiLi256E16rocblas_bfloat16fPKfPS0_EviT3_lT4_lT_li.num_named_barrier, 0
	.set _ZL19rocblas_scal_kernelIiLi256E16rocblas_bfloat16fPKfPS0_EviT3_lT4_lT_li.private_seg_size, 0
	.set _ZL19rocblas_scal_kernelIiLi256E16rocblas_bfloat16fPKfPS0_EviT3_lT4_lT_li.uses_vcc, 1
	.set _ZL19rocblas_scal_kernelIiLi256E16rocblas_bfloat16fPKfPS0_EviT3_lT4_lT_li.uses_flat_scratch, 0
	.set _ZL19rocblas_scal_kernelIiLi256E16rocblas_bfloat16fPKfPS0_EviT3_lT4_lT_li.has_dyn_sized_stack, 0
	.set _ZL19rocblas_scal_kernelIiLi256E16rocblas_bfloat16fPKfPS0_EviT3_lT4_lT_li.has_recursion, 0
	.set _ZL19rocblas_scal_kernelIiLi256E16rocblas_bfloat16fPKfPS0_EviT3_lT4_lT_li.has_indirect_call, 0
	.section	.AMDGPU.csdata,"",@progbits
; Kernel info:
; codeLenInByte = 456
; TotalNumSgprs: 21
; NumVgprs: 7
; ScratchSize: 0
; MemoryBound: 0
; FloatMode: 240
; IeeeMode: 1
; LDSByteSize: 0 bytes/workgroup (compile time only)
; SGPRBlocks: 0
; VGPRBlocks: 0
; NumSGPRsForWavesPerEU: 21
; NumVGPRsForWavesPerEU: 7
; NamedBarCnt: 0
; Occupancy: 16
; WaveLimiterHint : 0
; COMPUTE_PGM_RSRC2:SCRATCH_EN: 0
; COMPUTE_PGM_RSRC2:USER_SGPR: 2
; COMPUTE_PGM_RSRC2:TRAP_HANDLER: 0
; COMPUTE_PGM_RSRC2:TGID_X_EN: 1
; COMPUTE_PGM_RSRC2:TGID_Y_EN: 0
; COMPUTE_PGM_RSRC2:TGID_Z_EN: 1
; COMPUTE_PGM_RSRC2:TIDIG_COMP_CNT: 0
	.section	.text._ZL19rocblas_scal_kernelIiLi256E16rocblas_bfloat16ffPS0_EviT3_lT4_lT_li,"axG",@progbits,_ZL19rocblas_scal_kernelIiLi256E16rocblas_bfloat16ffPS0_EviT3_lT4_lT_li,comdat
	.globl	_ZL19rocblas_scal_kernelIiLi256E16rocblas_bfloat16ffPS0_EviT3_lT4_lT_li ; -- Begin function _ZL19rocblas_scal_kernelIiLi256E16rocblas_bfloat16ffPS0_EviT3_lT4_lT_li
	.p2align	8
	.type	_ZL19rocblas_scal_kernelIiLi256E16rocblas_bfloat16ffPS0_EviT3_lT4_lT_li,@function
_ZL19rocblas_scal_kernelIiLi256E16rocblas_bfloat16ffPS0_EviT3_lT4_lT_li: ; @_ZL19rocblas_scal_kernelIiLi256E16rocblas_bfloat16ffPS0_EviT3_lT4_lT_li
; %bb.0:
	s_load_b32 s6, s[0:1], 0x30
	s_bfe_u32 s2, ttmp6, 0x40014
	s_lshr_b32 s3, ttmp7, 16
	s_add_co_i32 s2, s2, 1
	s_bfe_u32 s4, ttmp6, 0x40008
	s_mul_i32 s2, s3, s2
	s_getreg_b32 s7, hwreg(HW_REG_IB_STS2, 6, 4)
	s_add_co_i32 s4, s4, s2
	s_cmp_eq_u32 s7, 0
	s_cselect_b32 s2, s3, s4
	s_mov_b32 s3, 0
	s_wait_kmcnt 0x0
	s_cmp_ge_u32 s2, s6
	s_cbranch_scc1 .LBB97_9
; %bb.1:
	s_clause 0x1
	s_load_b32 s12, s[0:1], 0x20
	s_load_b128 s[8:11], s[0:1], 0x10
	s_bfe_u32 s4, ttmp6, 0x4000c
	s_and_b32 s13, ttmp6, 15
	s_add_co_i32 s4, s4, 1
	v_mov_b32_e32 v1, 0
	s_mul_i32 s14, ttmp9, s4
	s_load_b64 s[4:5], s[0:1], 0x28
	s_add_co_i32 s14, s13, s14
	s_wait_xcnt 0x0
	s_load_b64 s[0:1], s[0:1], 0x0
	s_wait_kmcnt 0x0
	s_ashr_i32 s13, s12, 31
	s_lshl_b64 s[10:11], s[10:11], 1
	s_cmp_eq_u32 s7, 0
	s_add_nc_u64 s[8:9], s[8:9], s[10:11]
	s_cselect_b32 s7, ttmp9, s14
	s_delay_alu instid0(SALU_CYCLE_1) | instskip(SKIP_1) | instid1(VALU_DEP_1)
	v_lshl_or_b32 v0, s7, 8, v0
	s_cmp_neq_f32 s1, 1.0
	v_mul_u64_e32 v[2:3], s[12:13], v[0:1]
	v_cmp_gt_u32_e32 vcc_lo, s0, v0
	s_cselect_b32 s0, -1, 0
	s_delay_alu instid0(SALU_CYCLE_1) | instskip(NEXT) | instid1(VALU_DEP_2)
	s_and_b32 s0, vcc_lo, s0
	v_lshl_add_u64 v[0:1], v[2:3], 1, s[8:9]
	s_branch .LBB97_4
.LBB97_2:                               ;   in Loop: Header=BB97_4 Depth=1
	s_or_b32 exec_lo, exec_lo, s8
	global_store_d16_hi_b16 v[2:3], v5, off
.LBB97_3:                               ;   in Loop: Header=BB97_4 Depth=1
	s_wait_xcnt 0x0
	s_or_b32 exec_lo, exec_lo, s7
	s_add_co_i32 s2, s2, 0x10000
	s_delay_alu instid0(SALU_CYCLE_1)
	s_cmp_lt_u32 s2, s6
	s_cbranch_scc0 .LBB97_9
.LBB97_4:                               ; =>This Inner Loop Header: Depth=1
	s_and_saveexec_b32 s7, s0
	s_cbranch_execz .LBB97_3
; %bb.5:                                ;   in Loop: Header=BB97_4 Depth=1
	s_mul_u64 s[8:9], s[4:5], s[2:3]
	s_delay_alu instid0(SALU_CYCLE_1) | instskip(SKIP_3) | instid1(VALU_DEP_1)
	v_lshl_add_u64 v[2:3], s[8:9], 1, v[0:1]
	global_load_u16 v4, v[2:3], off
	s_wait_loadcnt 0x0
	v_lshlrev_b32_e32 v4, 16, v4
	v_mul_f32_e32 v4, s1, v4
	s_delay_alu instid0(VALU_DEP_1) | instskip(NEXT) | instid1(VALU_DEP_1)
	v_and_b32_e32 v5, 0x7f800000, v4
	v_cmp_ne_u32_e32 vcc_lo, 0x7f800000, v5
                                        ; implicit-def: $vgpr5
	s_wait_xcnt 0x0
	s_and_saveexec_b32 s8, vcc_lo
	s_delay_alu instid0(SALU_CYCLE_1)
	s_xor_b32 s8, exec_lo, s8
; %bb.6:                                ;   in Loop: Header=BB97_4 Depth=1
	v_bfe_u32 v5, v4, 16, 1
	s_delay_alu instid0(VALU_DEP_1)
	v_add3_u32 v5, v4, v5, 0x7fff
                                        ; implicit-def: $vgpr4
; %bb.7:                                ;   in Loop: Header=BB97_4 Depth=1
	s_and_not1_saveexec_b32 s8, s8
	s_cbranch_execz .LBB97_2
; %bb.8:                                ;   in Loop: Header=BB97_4 Depth=1
	v_and_b32_e32 v5, 0xffff, v4
	v_or_b32_e32 v6, 0x10000, v4
	s_delay_alu instid0(VALU_DEP_2) | instskip(NEXT) | instid1(VALU_DEP_2)
	v_cmp_eq_u32_e32 vcc_lo, 0, v5
	v_cndmask_b32_e32 v5, v6, v4, vcc_lo
	s_branch .LBB97_2
.LBB97_9:
	s_endpgm
	.section	.rodata,"a",@progbits
	.p2align	6, 0x0
	.amdhsa_kernel _ZL19rocblas_scal_kernelIiLi256E16rocblas_bfloat16ffPS0_EviT3_lT4_lT_li
		.amdhsa_group_segment_fixed_size 0
		.amdhsa_private_segment_fixed_size 0
		.amdhsa_kernarg_size 52
		.amdhsa_user_sgpr_count 2
		.amdhsa_user_sgpr_dispatch_ptr 0
		.amdhsa_user_sgpr_queue_ptr 0
		.amdhsa_user_sgpr_kernarg_segment_ptr 1
		.amdhsa_user_sgpr_dispatch_id 0
		.amdhsa_user_sgpr_kernarg_preload_length 0
		.amdhsa_user_sgpr_kernarg_preload_offset 0
		.amdhsa_user_sgpr_private_segment_size 0
		.amdhsa_wavefront_size32 1
		.amdhsa_uses_dynamic_stack 0
		.amdhsa_enable_private_segment 0
		.amdhsa_system_sgpr_workgroup_id_x 1
		.amdhsa_system_sgpr_workgroup_id_y 0
		.amdhsa_system_sgpr_workgroup_id_z 1
		.amdhsa_system_sgpr_workgroup_info 0
		.amdhsa_system_vgpr_workitem_id 0
		.amdhsa_next_free_vgpr 7
		.amdhsa_next_free_sgpr 15
		.amdhsa_named_barrier_count 0
		.amdhsa_reserve_vcc 1
		.amdhsa_float_round_mode_32 0
		.amdhsa_float_round_mode_16_64 0
		.amdhsa_float_denorm_mode_32 3
		.amdhsa_float_denorm_mode_16_64 3
		.amdhsa_fp16_overflow 0
		.amdhsa_memory_ordered 1
		.amdhsa_forward_progress 1
		.amdhsa_inst_pref_size 4
		.amdhsa_round_robin_scheduling 0
		.amdhsa_exception_fp_ieee_invalid_op 0
		.amdhsa_exception_fp_denorm_src 0
		.amdhsa_exception_fp_ieee_div_zero 0
		.amdhsa_exception_fp_ieee_overflow 0
		.amdhsa_exception_fp_ieee_underflow 0
		.amdhsa_exception_fp_ieee_inexact 0
		.amdhsa_exception_int_div_zero 0
	.end_amdhsa_kernel
	.section	.text._ZL19rocblas_scal_kernelIiLi256E16rocblas_bfloat16ffPS0_EviT3_lT4_lT_li,"axG",@progbits,_ZL19rocblas_scal_kernelIiLi256E16rocblas_bfloat16ffPS0_EviT3_lT4_lT_li,comdat
.Lfunc_end97:
	.size	_ZL19rocblas_scal_kernelIiLi256E16rocblas_bfloat16ffPS0_EviT3_lT4_lT_li, .Lfunc_end97-_ZL19rocblas_scal_kernelIiLi256E16rocblas_bfloat16ffPS0_EviT3_lT4_lT_li
                                        ; -- End function
	.set _ZL19rocblas_scal_kernelIiLi256E16rocblas_bfloat16ffPS0_EviT3_lT4_lT_li.num_vgpr, 7
	.set _ZL19rocblas_scal_kernelIiLi256E16rocblas_bfloat16ffPS0_EviT3_lT4_lT_li.num_agpr, 0
	.set _ZL19rocblas_scal_kernelIiLi256E16rocblas_bfloat16ffPS0_EviT3_lT4_lT_li.numbered_sgpr, 15
	.set _ZL19rocblas_scal_kernelIiLi256E16rocblas_bfloat16ffPS0_EviT3_lT4_lT_li.num_named_barrier, 0
	.set _ZL19rocblas_scal_kernelIiLi256E16rocblas_bfloat16ffPS0_EviT3_lT4_lT_li.private_seg_size, 0
	.set _ZL19rocblas_scal_kernelIiLi256E16rocblas_bfloat16ffPS0_EviT3_lT4_lT_li.uses_vcc, 1
	.set _ZL19rocblas_scal_kernelIiLi256E16rocblas_bfloat16ffPS0_EviT3_lT4_lT_li.uses_flat_scratch, 0
	.set _ZL19rocblas_scal_kernelIiLi256E16rocblas_bfloat16ffPS0_EviT3_lT4_lT_li.has_dyn_sized_stack, 0
	.set _ZL19rocblas_scal_kernelIiLi256E16rocblas_bfloat16ffPS0_EviT3_lT4_lT_li.has_recursion, 0
	.set _ZL19rocblas_scal_kernelIiLi256E16rocblas_bfloat16ffPS0_EviT3_lT4_lT_li.has_indirect_call, 0
	.section	.AMDGPU.csdata,"",@progbits
; Kernel info:
; codeLenInByte = 404
; TotalNumSgprs: 17
; NumVgprs: 7
; ScratchSize: 0
; MemoryBound: 0
; FloatMode: 240
; IeeeMode: 1
; LDSByteSize: 0 bytes/workgroup (compile time only)
; SGPRBlocks: 0
; VGPRBlocks: 0
; NumSGPRsForWavesPerEU: 17
; NumVGPRsForWavesPerEU: 7
; NamedBarCnt: 0
; Occupancy: 16
; WaveLimiterHint : 0
; COMPUTE_PGM_RSRC2:SCRATCH_EN: 0
; COMPUTE_PGM_RSRC2:USER_SGPR: 2
; COMPUTE_PGM_RSRC2:TRAP_HANDLER: 0
; COMPUTE_PGM_RSRC2:TGID_X_EN: 1
; COMPUTE_PGM_RSRC2:TGID_Y_EN: 0
; COMPUTE_PGM_RSRC2:TGID_Z_EN: 1
; COMPUTE_PGM_RSRC2:TIDIG_COMP_CNT: 0
	.section	.text._ZL19rocblas_scal_kernelIlLi256E16rocblas_bfloat16fPKfPS0_EviT3_lT4_lT_li,"axG",@progbits,_ZL19rocblas_scal_kernelIlLi256E16rocblas_bfloat16fPKfPS0_EviT3_lT4_lT_li,comdat
	.globl	_ZL19rocblas_scal_kernelIlLi256E16rocblas_bfloat16fPKfPS0_EviT3_lT4_lT_li ; -- Begin function _ZL19rocblas_scal_kernelIlLi256E16rocblas_bfloat16fPKfPS0_EviT3_lT4_lT_li
	.p2align	8
	.type	_ZL19rocblas_scal_kernelIlLi256E16rocblas_bfloat16fPKfPS0_EviT3_lT4_lT_li,@function
_ZL19rocblas_scal_kernelIlLi256E16rocblas_bfloat16fPKfPS0_EviT3_lT4_lT_li: ; @_ZL19rocblas_scal_kernelIlLi256E16rocblas_bfloat16fPKfPS0_EviT3_lT4_lT_li
; %bb.0:
	s_load_b32 s16, s[0:1], 0x38
	s_bfe_u32 s2, ttmp6, 0x40014
	s_lshr_b32 s3, ttmp7, 16
	s_add_co_i32 s2, s2, 1
	s_bfe_u32 s4, ttmp6, 0x40008
	s_mul_i32 s2, s3, s2
	s_getreg_b32 s17, hwreg(HW_REG_IB_STS2, 6, 4)
	s_add_co_i32 s4, s4, s2
	s_cmp_eq_u32 s17, 0
	s_cselect_b32 s2, s3, s4
	s_mov_b32 s3, 0
	s_wait_kmcnt 0x0
	s_cmp_ge_u32 s2, s16
	s_cbranch_scc1 .LBB98_9
; %bb.1:
	s_clause 0x1
	s_load_b256 s[4:11], s[0:1], 0x8
	s_load_b128 s[12:15], s[0:1], 0x28
	s_bfe_u32 s18, ttmp6, 0x4000c
	s_and_b32 s19, ttmp6, 15
	s_add_co_i32 s18, s18, 1
	v_mov_b32_e32 v1, 0
	s_mul_i32 s18, ttmp9, s18
	s_delay_alu instid0(SALU_CYCLE_1) | instskip(SKIP_4) | instid1(SALU_CYCLE_1)
	s_add_co_i32 s19, s19, s18
	s_wait_kmcnt 0x0
	s_lshl_b64 s[10:11], s[10:11], 1
	s_cmp_eq_u32 s17, 0
	s_cselect_b32 s17, ttmp9, s19
	v_lshl_or_b32 v0, s17, 8, v0
	s_delay_alu instid0(VALU_DEP_1)
	v_mul_u64_e32 v[2:3], s[12:13], v[0:1]
	s_load_b32 s12, s[0:1], 0x0
	s_wait_xcnt 0x0
	s_add_nc_u64 s[0:1], s[8:9], s[10:11]
	s_wait_kmcnt 0x0
	v_cmp_gt_u32_e32 vcc_lo, s12, v0
	s_delay_alu instid0(VALU_DEP_2)
	v_lshl_add_u64 v[0:1], v[2:3], 1, s[0:1]
	s_branch .LBB98_4
.LBB98_2:                               ;   in Loop: Header=BB98_4 Depth=1
	s_or_b32 exec_lo, exec_lo, s8
	global_store_d16_hi_b16 v[2:3], v5, off
.LBB98_3:                               ;   in Loop: Header=BB98_4 Depth=1
	s_wait_xcnt 0x0
	s_or_b32 exec_lo, exec_lo, s1
	s_add_co_i32 s2, s2, 0x10000
	s_delay_alu instid0(SALU_CYCLE_1)
	s_cmp_lt_u32 s2, s16
	s_cbranch_scc0 .LBB98_9
.LBB98_4:                               ; =>This Inner Loop Header: Depth=1
	s_mul_u64 s[0:1], s[6:7], s[2:3]
	s_delay_alu instid0(SALU_CYCLE_1) | instskip(NEXT) | instid1(SALU_CYCLE_1)
	s_lshl_b64 s[0:1], s[0:1], 2
	s_add_nc_u64 s[0:1], s[4:5], s[0:1]
	s_load_b32 s0, s[0:1], 0x0
	s_wait_kmcnt 0x0
	s_cmp_neq_f32 s0, 1.0
	s_wait_xcnt 0x0
	s_cselect_b32 s1, -1, 0
	s_delay_alu instid0(SALU_CYCLE_1) | instskip(NEXT) | instid1(SALU_CYCLE_1)
	s_and_b32 s8, vcc_lo, s1
	s_and_saveexec_b32 s1, s8
	s_cbranch_execz .LBB98_3
; %bb.5:                                ;   in Loop: Header=BB98_4 Depth=1
	s_mul_u64 s[8:9], s[14:15], s[2:3]
	s_delay_alu instid0(SALU_CYCLE_1) | instskip(SKIP_3) | instid1(VALU_DEP_1)
	v_lshl_add_u64 v[2:3], s[8:9], 1, v[0:1]
	global_load_u16 v4, v[2:3], off
	s_wait_loadcnt 0x0
	v_lshlrev_b32_e32 v4, 16, v4
	v_mul_f32_e32 v4, s0, v4
	s_delay_alu instid0(VALU_DEP_1) | instskip(NEXT) | instid1(VALU_DEP_1)
	v_and_b32_e32 v5, 0x7f800000, v4
	v_cmp_ne_u32_e64 s0, 0x7f800000, v5
                                        ; implicit-def: $vgpr5
	s_wait_xcnt 0x0
	s_and_saveexec_b32 s8, s0
	s_delay_alu instid0(SALU_CYCLE_1)
	s_xor_b32 s0, exec_lo, s8
; %bb.6:                                ;   in Loop: Header=BB98_4 Depth=1
	v_bfe_u32 v5, v4, 16, 1
	s_delay_alu instid0(VALU_DEP_1)
	v_add3_u32 v5, v4, v5, 0x7fff
                                        ; implicit-def: $vgpr4
; %bb.7:                                ;   in Loop: Header=BB98_4 Depth=1
	s_and_not1_saveexec_b32 s8, s0
	s_cbranch_execz .LBB98_2
; %bb.8:                                ;   in Loop: Header=BB98_4 Depth=1
	v_and_b32_e32 v5, 0xffff, v4
	v_or_b32_e32 v6, 0x10000, v4
	s_delay_alu instid0(VALU_DEP_2) | instskip(NEXT) | instid1(VALU_DEP_1)
	v_cmp_eq_u32_e64 s0, 0, v5
	v_cndmask_b32_e64 v5, v6, v4, s0
	s_branch .LBB98_2
.LBB98_9:
	s_endpgm
	.section	.rodata,"a",@progbits
	.p2align	6, 0x0
	.amdhsa_kernel _ZL19rocblas_scal_kernelIlLi256E16rocblas_bfloat16fPKfPS0_EviT3_lT4_lT_li
		.amdhsa_group_segment_fixed_size 0
		.amdhsa_private_segment_fixed_size 0
		.amdhsa_kernarg_size 60
		.amdhsa_user_sgpr_count 2
		.amdhsa_user_sgpr_dispatch_ptr 0
		.amdhsa_user_sgpr_queue_ptr 0
		.amdhsa_user_sgpr_kernarg_segment_ptr 1
		.amdhsa_user_sgpr_dispatch_id 0
		.amdhsa_user_sgpr_kernarg_preload_length 0
		.amdhsa_user_sgpr_kernarg_preload_offset 0
		.amdhsa_user_sgpr_private_segment_size 0
		.amdhsa_wavefront_size32 1
		.amdhsa_uses_dynamic_stack 0
		.amdhsa_enable_private_segment 0
		.amdhsa_system_sgpr_workgroup_id_x 1
		.amdhsa_system_sgpr_workgroup_id_y 0
		.amdhsa_system_sgpr_workgroup_id_z 1
		.amdhsa_system_sgpr_workgroup_info 0
		.amdhsa_system_vgpr_workitem_id 0
		.amdhsa_next_free_vgpr 7
		.amdhsa_next_free_sgpr 20
		.amdhsa_named_barrier_count 0
		.amdhsa_reserve_vcc 1
		.amdhsa_float_round_mode_32 0
		.amdhsa_float_round_mode_16_64 0
		.amdhsa_float_denorm_mode_32 3
		.amdhsa_float_denorm_mode_16_64 3
		.amdhsa_fp16_overflow 0
		.amdhsa_memory_ordered 1
		.amdhsa_forward_progress 1
		.amdhsa_inst_pref_size 4
		.amdhsa_round_robin_scheduling 0
		.amdhsa_exception_fp_ieee_invalid_op 0
		.amdhsa_exception_fp_denorm_src 0
		.amdhsa_exception_fp_ieee_div_zero 0
		.amdhsa_exception_fp_ieee_overflow 0
		.amdhsa_exception_fp_ieee_underflow 0
		.amdhsa_exception_fp_ieee_inexact 0
		.amdhsa_exception_int_div_zero 0
	.end_amdhsa_kernel
	.section	.text._ZL19rocblas_scal_kernelIlLi256E16rocblas_bfloat16fPKfPS0_EviT3_lT4_lT_li,"axG",@progbits,_ZL19rocblas_scal_kernelIlLi256E16rocblas_bfloat16fPKfPS0_EviT3_lT4_lT_li,comdat
.Lfunc_end98:
	.size	_ZL19rocblas_scal_kernelIlLi256E16rocblas_bfloat16fPKfPS0_EviT3_lT4_lT_li, .Lfunc_end98-_ZL19rocblas_scal_kernelIlLi256E16rocblas_bfloat16fPKfPS0_EviT3_lT4_lT_li
                                        ; -- End function
	.set _ZL19rocblas_scal_kernelIlLi256E16rocblas_bfloat16fPKfPS0_EviT3_lT4_lT_li.num_vgpr, 7
	.set _ZL19rocblas_scal_kernelIlLi256E16rocblas_bfloat16fPKfPS0_EviT3_lT4_lT_li.num_agpr, 0
	.set _ZL19rocblas_scal_kernelIlLi256E16rocblas_bfloat16fPKfPS0_EviT3_lT4_lT_li.numbered_sgpr, 20
	.set _ZL19rocblas_scal_kernelIlLi256E16rocblas_bfloat16fPKfPS0_EviT3_lT4_lT_li.num_named_barrier, 0
	.set _ZL19rocblas_scal_kernelIlLi256E16rocblas_bfloat16fPKfPS0_EviT3_lT4_lT_li.private_seg_size, 0
	.set _ZL19rocblas_scal_kernelIlLi256E16rocblas_bfloat16fPKfPS0_EviT3_lT4_lT_li.uses_vcc, 1
	.set _ZL19rocblas_scal_kernelIlLi256E16rocblas_bfloat16fPKfPS0_EviT3_lT4_lT_li.uses_flat_scratch, 0
	.set _ZL19rocblas_scal_kernelIlLi256E16rocblas_bfloat16fPKfPS0_EviT3_lT4_lT_li.has_dyn_sized_stack, 0
	.set _ZL19rocblas_scal_kernelIlLi256E16rocblas_bfloat16fPKfPS0_EviT3_lT4_lT_li.has_recursion, 0
	.set _ZL19rocblas_scal_kernelIlLi256E16rocblas_bfloat16fPKfPS0_EviT3_lT4_lT_li.has_indirect_call, 0
	.section	.AMDGPU.csdata,"",@progbits
; Kernel info:
; codeLenInByte = 448
; TotalNumSgprs: 22
; NumVgprs: 7
; ScratchSize: 0
; MemoryBound: 0
; FloatMode: 240
; IeeeMode: 1
; LDSByteSize: 0 bytes/workgroup (compile time only)
; SGPRBlocks: 0
; VGPRBlocks: 0
; NumSGPRsForWavesPerEU: 22
; NumVGPRsForWavesPerEU: 7
; NamedBarCnt: 0
; Occupancy: 16
; WaveLimiterHint : 0
; COMPUTE_PGM_RSRC2:SCRATCH_EN: 0
; COMPUTE_PGM_RSRC2:USER_SGPR: 2
; COMPUTE_PGM_RSRC2:TRAP_HANDLER: 0
; COMPUTE_PGM_RSRC2:TGID_X_EN: 1
; COMPUTE_PGM_RSRC2:TGID_Y_EN: 0
; COMPUTE_PGM_RSRC2:TGID_Z_EN: 1
; COMPUTE_PGM_RSRC2:TIDIG_COMP_CNT: 0
	.section	.text._ZL19rocblas_scal_kernelIlLi256E16rocblas_bfloat16ffPS0_EviT3_lT4_lT_li,"axG",@progbits,_ZL19rocblas_scal_kernelIlLi256E16rocblas_bfloat16ffPS0_EviT3_lT4_lT_li,comdat
	.globl	_ZL19rocblas_scal_kernelIlLi256E16rocblas_bfloat16ffPS0_EviT3_lT4_lT_li ; -- Begin function _ZL19rocblas_scal_kernelIlLi256E16rocblas_bfloat16ffPS0_EviT3_lT4_lT_li
	.p2align	8
	.type	_ZL19rocblas_scal_kernelIlLi256E16rocblas_bfloat16ffPS0_EviT3_lT4_lT_li,@function
_ZL19rocblas_scal_kernelIlLi256E16rocblas_bfloat16ffPS0_EviT3_lT4_lT_li: ; @_ZL19rocblas_scal_kernelIlLi256E16rocblas_bfloat16ffPS0_EviT3_lT4_lT_li
; %bb.0:
	s_load_b32 s12, s[0:1], 0x30
	s_bfe_u32 s2, ttmp6, 0x40014
	s_lshr_b32 s3, ttmp7, 16
	s_add_co_i32 s2, s2, 1
	s_bfe_u32 s4, ttmp6, 0x40008
	s_mul_i32 s2, s3, s2
	s_getreg_b32 s13, hwreg(HW_REG_IB_STS2, 6, 4)
	s_add_co_i32 s4, s4, s2
	s_cmp_eq_u32 s13, 0
	s_cselect_b32 s2, s3, s4
	s_mov_b32 s3, 0
	s_wait_kmcnt 0x0
	s_cmp_ge_u32 s2, s12
	s_cbranch_scc1 .LBB99_9
; %bb.1:
	s_load_b256 s[4:11], s[0:1], 0x10
	s_bfe_u32 s14, ttmp6, 0x4000c
	s_and_b32 s15, ttmp6, 15
	s_add_co_i32 s14, s14, 1
	v_mov_b32_e32 v1, 0
	s_mul_i32 s14, ttmp9, s14
	s_wait_xcnt 0x0
	s_load_b64 s[0:1], s[0:1], 0x0
	s_add_co_i32 s15, s15, s14
	s_wait_kmcnt 0x0
	s_lshl_b64 s[6:7], s[6:7], 1
	s_cmp_eq_u32 s13, 0
	s_add_nc_u64 s[4:5], s[4:5], s[6:7]
	s_cselect_b32 s13, ttmp9, s15
	s_delay_alu instid0(SALU_CYCLE_1) | instskip(SKIP_1) | instid1(VALU_DEP_1)
	v_lshl_or_b32 v0, s13, 8, v0
	s_cmp_neq_f32 s1, 1.0
	v_mul_u64_e32 v[2:3], s[8:9], v[0:1]
	v_cmp_gt_u32_e32 vcc_lo, s0, v0
	s_cselect_b32 s0, -1, 0
	s_delay_alu instid0(SALU_CYCLE_1) | instskip(NEXT) | instid1(VALU_DEP_2)
	s_and_b32 s0, vcc_lo, s0
	v_lshl_add_u64 v[0:1], v[2:3], 1, s[4:5]
	s_branch .LBB99_4
.LBB99_2:                               ;   in Loop: Header=BB99_4 Depth=1
	s_or_b32 exec_lo, exec_lo, s5
	global_store_d16_hi_b16 v[2:3], v5, off
.LBB99_3:                               ;   in Loop: Header=BB99_4 Depth=1
	s_wait_xcnt 0x0
	s_or_b32 exec_lo, exec_lo, s4
	s_add_co_i32 s2, s2, 0x10000
	s_delay_alu instid0(SALU_CYCLE_1)
	s_cmp_lt_u32 s2, s12
	s_cbranch_scc0 .LBB99_9
.LBB99_4:                               ; =>This Inner Loop Header: Depth=1
	s_and_saveexec_b32 s4, s0
	s_cbranch_execz .LBB99_3
; %bb.5:                                ;   in Loop: Header=BB99_4 Depth=1
	s_mul_u64 s[6:7], s[10:11], s[2:3]
	s_delay_alu instid0(SALU_CYCLE_1) | instskip(SKIP_3) | instid1(VALU_DEP_1)
	v_lshl_add_u64 v[2:3], s[6:7], 1, v[0:1]
	global_load_u16 v4, v[2:3], off
	s_wait_loadcnt 0x0
	v_lshlrev_b32_e32 v4, 16, v4
	v_mul_f32_e32 v4, s1, v4
	s_delay_alu instid0(VALU_DEP_1) | instskip(NEXT) | instid1(VALU_DEP_1)
	v_and_b32_e32 v5, 0x7f800000, v4
	v_cmp_ne_u32_e32 vcc_lo, 0x7f800000, v5
                                        ; implicit-def: $vgpr5
	s_wait_xcnt 0x0
	s_and_saveexec_b32 s5, vcc_lo
	s_delay_alu instid0(SALU_CYCLE_1)
	s_xor_b32 s5, exec_lo, s5
; %bb.6:                                ;   in Loop: Header=BB99_4 Depth=1
	v_bfe_u32 v5, v4, 16, 1
	s_delay_alu instid0(VALU_DEP_1)
	v_add3_u32 v5, v4, v5, 0x7fff
                                        ; implicit-def: $vgpr4
; %bb.7:                                ;   in Loop: Header=BB99_4 Depth=1
	s_and_not1_saveexec_b32 s5, s5
	s_cbranch_execz .LBB99_2
; %bb.8:                                ;   in Loop: Header=BB99_4 Depth=1
	v_and_b32_e32 v5, 0xffff, v4
	v_or_b32_e32 v6, 0x10000, v4
	s_delay_alu instid0(VALU_DEP_2) | instskip(NEXT) | instid1(VALU_DEP_2)
	v_cmp_eq_u32_e32 vcc_lo, 0, v5
	v_cndmask_b32_e32 v5, v6, v4, vcc_lo
	s_branch .LBB99_2
.LBB99_9:
	s_endpgm
	.section	.rodata,"a",@progbits
	.p2align	6, 0x0
	.amdhsa_kernel _ZL19rocblas_scal_kernelIlLi256E16rocblas_bfloat16ffPS0_EviT3_lT4_lT_li
		.amdhsa_group_segment_fixed_size 0
		.amdhsa_private_segment_fixed_size 0
		.amdhsa_kernarg_size 52
		.amdhsa_user_sgpr_count 2
		.amdhsa_user_sgpr_dispatch_ptr 0
		.amdhsa_user_sgpr_queue_ptr 0
		.amdhsa_user_sgpr_kernarg_segment_ptr 1
		.amdhsa_user_sgpr_dispatch_id 0
		.amdhsa_user_sgpr_kernarg_preload_length 0
		.amdhsa_user_sgpr_kernarg_preload_offset 0
		.amdhsa_user_sgpr_private_segment_size 0
		.amdhsa_wavefront_size32 1
		.amdhsa_uses_dynamic_stack 0
		.amdhsa_enable_private_segment 0
		.amdhsa_system_sgpr_workgroup_id_x 1
		.amdhsa_system_sgpr_workgroup_id_y 0
		.amdhsa_system_sgpr_workgroup_id_z 1
		.amdhsa_system_sgpr_workgroup_info 0
		.amdhsa_system_vgpr_workitem_id 0
		.amdhsa_next_free_vgpr 7
		.amdhsa_next_free_sgpr 16
		.amdhsa_named_barrier_count 0
		.amdhsa_reserve_vcc 1
		.amdhsa_float_round_mode_32 0
		.amdhsa_float_round_mode_16_64 0
		.amdhsa_float_denorm_mode_32 3
		.amdhsa_float_denorm_mode_16_64 3
		.amdhsa_fp16_overflow 0
		.amdhsa_memory_ordered 1
		.amdhsa_forward_progress 1
		.amdhsa_inst_pref_size 3
		.amdhsa_round_robin_scheduling 0
		.amdhsa_exception_fp_ieee_invalid_op 0
		.amdhsa_exception_fp_denorm_src 0
		.amdhsa_exception_fp_ieee_div_zero 0
		.amdhsa_exception_fp_ieee_overflow 0
		.amdhsa_exception_fp_ieee_underflow 0
		.amdhsa_exception_fp_ieee_inexact 0
		.amdhsa_exception_int_div_zero 0
	.end_amdhsa_kernel
	.section	.text._ZL19rocblas_scal_kernelIlLi256E16rocblas_bfloat16ffPS0_EviT3_lT4_lT_li,"axG",@progbits,_ZL19rocblas_scal_kernelIlLi256E16rocblas_bfloat16ffPS0_EviT3_lT4_lT_li,comdat
.Lfunc_end99:
	.size	_ZL19rocblas_scal_kernelIlLi256E16rocblas_bfloat16ffPS0_EviT3_lT4_lT_li, .Lfunc_end99-_ZL19rocblas_scal_kernelIlLi256E16rocblas_bfloat16ffPS0_EviT3_lT4_lT_li
                                        ; -- End function
	.set _ZL19rocblas_scal_kernelIlLi256E16rocblas_bfloat16ffPS0_EviT3_lT4_lT_li.num_vgpr, 7
	.set _ZL19rocblas_scal_kernelIlLi256E16rocblas_bfloat16ffPS0_EviT3_lT4_lT_li.num_agpr, 0
	.set _ZL19rocblas_scal_kernelIlLi256E16rocblas_bfloat16ffPS0_EviT3_lT4_lT_li.numbered_sgpr, 16
	.set _ZL19rocblas_scal_kernelIlLi256E16rocblas_bfloat16ffPS0_EviT3_lT4_lT_li.num_named_barrier, 0
	.set _ZL19rocblas_scal_kernelIlLi256E16rocblas_bfloat16ffPS0_EviT3_lT4_lT_li.private_seg_size, 0
	.set _ZL19rocblas_scal_kernelIlLi256E16rocblas_bfloat16ffPS0_EviT3_lT4_lT_li.uses_vcc, 1
	.set _ZL19rocblas_scal_kernelIlLi256E16rocblas_bfloat16ffPS0_EviT3_lT4_lT_li.uses_flat_scratch, 0
	.set _ZL19rocblas_scal_kernelIlLi256E16rocblas_bfloat16ffPS0_EviT3_lT4_lT_li.has_dyn_sized_stack, 0
	.set _ZL19rocblas_scal_kernelIlLi256E16rocblas_bfloat16ffPS0_EviT3_lT4_lT_li.has_recursion, 0
	.set _ZL19rocblas_scal_kernelIlLi256E16rocblas_bfloat16ffPS0_EviT3_lT4_lT_li.has_indirect_call, 0
	.section	.AMDGPU.csdata,"",@progbits
; Kernel info:
; codeLenInByte = 380
; TotalNumSgprs: 18
; NumVgprs: 7
; ScratchSize: 0
; MemoryBound: 0
; FloatMode: 240
; IeeeMode: 1
; LDSByteSize: 0 bytes/workgroup (compile time only)
; SGPRBlocks: 0
; VGPRBlocks: 0
; NumSGPRsForWavesPerEU: 18
; NumVGPRsForWavesPerEU: 7
; NamedBarCnt: 0
; Occupancy: 16
; WaveLimiterHint : 0
; COMPUTE_PGM_RSRC2:SCRATCH_EN: 0
; COMPUTE_PGM_RSRC2:USER_SGPR: 2
; COMPUTE_PGM_RSRC2:TRAP_HANDLER: 0
; COMPUTE_PGM_RSRC2:TGID_X_EN: 1
; COMPUTE_PGM_RSRC2:TGID_Y_EN: 0
; COMPUTE_PGM_RSRC2:TGID_Z_EN: 1
; COMPUTE_PGM_RSRC2:TIDIG_COMP_CNT: 0
	.section	.text._ZL22rocblas_sscal_2_kernelILi256EDF16_fPKDF16_PKPDF16_EviT2_lT3_lli,"axG",@progbits,_ZL22rocblas_sscal_2_kernelILi256EDF16_fPKDF16_PKPDF16_EviT2_lT3_lli,comdat
	.globl	_ZL22rocblas_sscal_2_kernelILi256EDF16_fPKDF16_PKPDF16_EviT2_lT3_lli ; -- Begin function _ZL22rocblas_sscal_2_kernelILi256EDF16_fPKDF16_PKPDF16_EviT2_lT3_lli
	.p2align	8
	.type	_ZL22rocblas_sscal_2_kernelILi256EDF16_fPKDF16_PKPDF16_EviT2_lT3_lli,@function
_ZL22rocblas_sscal_2_kernelILi256EDF16_fPKDF16_PKPDF16_EviT2_lT3_lli: ; @_ZL22rocblas_sscal_2_kernelILi256EDF16_fPKDF16_PKPDF16_EviT2_lT3_lli
; %bb.0:
	s_load_b32 s12, s[0:1], 0x30
	s_bfe_u32 s2, ttmp6, 0x40014
	s_lshr_b32 s3, ttmp7, 16
	s_add_co_i32 s2, s2, 1
	s_bfe_u32 s4, ttmp6, 0x40008
	s_mul_i32 s2, s3, s2
	s_getreg_b32 s13, hwreg(HW_REG_IB_STS2, 6, 4)
	s_add_co_i32 s4, s4, s2
	s_cmp_eq_u32 s13, 0
	s_cselect_b32 s2, s3, s4
	s_mov_b32 s3, 0
	s_wait_kmcnt 0x0
	s_cmp_ge_u32 s2, s12
	s_cbranch_scc1 .LBB100_9
; %bb.1:
	s_load_b32 s14, s[0:1], 0x0
	s_bfe_u32 s15, ttmp6, 0x4000c
	s_load_b256 s[4:11], s[0:1], 0x8
	s_add_co_i32 s15, s15, 1
	s_wait_xcnt 0x0
	s_and_b32 s0, ttmp6, 15
	s_mul_i32 s1, ttmp9, s15
	v_dual_mov_b32 v1, 0 :: v_dual_lshlrev_b32 v0, 1, v0
	s_add_co_i32 s0, s0, s1
	s_cmp_eq_u32 s13, 0
	s_cselect_b32 s0, ttmp9, s0
	s_delay_alu instid0(VALU_DEP_1) | instid1(SALU_CYCLE_1)
	v_lshl_or_b32 v0, s0, 9, v0
	s_delay_alu instid0(VALU_DEP_1)
	v_or_b32_e32 v2, 1, v0
	s_wait_kmcnt 0x0
	s_bitcmp1_b32 s14, 0
	s_cselect_b32 s1, -1, 0
	s_add_co_i32 s0, s14, -1
	s_lshl_b64 s[10:11], s[10:11], 1
	v_cmp_eq_u32_e32 vcc_lo, s0, v0
	v_cmp_gt_u32_e64 s0, s14, v2
	s_and_b32 s1, s1, vcc_lo
	s_branch .LBB100_4
.LBB100_2:                              ;   in Loop: Header=BB100_4 Depth=1
	s_wait_xcnt 0x0
	s_or_b32 exec_lo, exec_lo, s13
.LBB100_3:                              ;   in Loop: Header=BB100_4 Depth=1
	s_add_co_i32 s2, s2, 0x10000
	s_delay_alu instid0(SALU_CYCLE_1)
	s_cmp_lt_u32 s2, s12
	s_cbranch_scc0 .LBB100_9
.LBB100_4:                              ; =>This Inner Loop Header: Depth=1
	s_wait_xcnt 0x0
	s_mul_u64 s[14:15], s[6:7], s[2:3]
	s_delay_alu instid0(SALU_CYCLE_1) | instskip(NEXT) | instid1(SALU_CYCLE_1)
	s_lshl_b64 s[14:15], s[14:15], 1
	s_add_nc_u64 s[14:15], s[4:5], s[14:15]
	global_load_u16 v4, v1, s[14:15]
	s_wait_loadcnt 0x0
	v_cmp_eq_f16_e32 vcc_lo, 1.0, v4
	s_cbranch_vccnz .LBB100_3
; %bb.5:                                ;   in Loop: Header=BB100_4 Depth=1
	s_wait_xcnt 0x0
	s_lshl_b64 s[14:15], s[2:3], 3
	s_delay_alu instid0(SALU_CYCLE_1) | instskip(SKIP_4) | instid1(SALU_CYCLE_1)
	s_add_nc_u64 s[14:15], s[8:9], s[14:15]
	s_load_b64 s[14:15], s[14:15], 0x0
	s_wait_kmcnt 0x0
	s_wait_xcnt 0x0
	s_add_nc_u64 s[14:15], s[14:15], s[10:11]
	v_lshl_add_u64 v[2:3], v[0:1], 1, s[14:15]
	s_and_saveexec_b32 s13, s0
	s_cbranch_execz .LBB100_7
; %bb.6:                                ;   in Loop: Header=BB100_4 Depth=1
	flat_load_b32 v5, v[2:3]
	s_wait_loadcnt_dscnt 0x0
	v_pk_mul_f16 v5, v4, v5 op_sel_hi:[0,1]
	flat_store_b32 v[2:3], v5
.LBB100_7:                              ;   in Loop: Header=BB100_4 Depth=1
	s_wait_xcnt 0x0
	s_or_b32 exec_lo, exec_lo, s13
	s_and_saveexec_b32 s13, s1
	s_cbranch_execz .LBB100_2
; %bb.8:                                ;   in Loop: Header=BB100_4 Depth=1
	flat_load_u16 v5, v[2:3]
	s_wait_loadcnt_dscnt 0x0
	v_mul_f16_e32 v4, v4, v5
	flat_store_b16 v[2:3], v4
	s_branch .LBB100_2
.LBB100_9:
	s_endpgm
	.section	.rodata,"a",@progbits
	.p2align	6, 0x0
	.amdhsa_kernel _ZL22rocblas_sscal_2_kernelILi256EDF16_fPKDF16_PKPDF16_EviT2_lT3_lli
		.amdhsa_group_segment_fixed_size 0
		.amdhsa_private_segment_fixed_size 0
		.amdhsa_kernarg_size 52
		.amdhsa_user_sgpr_count 2
		.amdhsa_user_sgpr_dispatch_ptr 0
		.amdhsa_user_sgpr_queue_ptr 0
		.amdhsa_user_sgpr_kernarg_segment_ptr 1
		.amdhsa_user_sgpr_dispatch_id 0
		.amdhsa_user_sgpr_kernarg_preload_length 0
		.amdhsa_user_sgpr_kernarg_preload_offset 0
		.amdhsa_user_sgpr_private_segment_size 0
		.amdhsa_wavefront_size32 1
		.amdhsa_uses_dynamic_stack 0
		.amdhsa_enable_private_segment 0
		.amdhsa_system_sgpr_workgroup_id_x 1
		.amdhsa_system_sgpr_workgroup_id_y 0
		.amdhsa_system_sgpr_workgroup_id_z 1
		.amdhsa_system_sgpr_workgroup_info 0
		.amdhsa_system_vgpr_workitem_id 0
		.amdhsa_next_free_vgpr 6
		.amdhsa_next_free_sgpr 16
		.amdhsa_named_barrier_count 0
		.amdhsa_reserve_vcc 1
		.amdhsa_float_round_mode_32 0
		.amdhsa_float_round_mode_16_64 0
		.amdhsa_float_denorm_mode_32 3
		.amdhsa_float_denorm_mode_16_64 3
		.amdhsa_fp16_overflow 0
		.amdhsa_memory_ordered 1
		.amdhsa_forward_progress 1
		.amdhsa_inst_pref_size 4
		.amdhsa_round_robin_scheduling 0
		.amdhsa_exception_fp_ieee_invalid_op 0
		.amdhsa_exception_fp_denorm_src 0
		.amdhsa_exception_fp_ieee_div_zero 0
		.amdhsa_exception_fp_ieee_overflow 0
		.amdhsa_exception_fp_ieee_underflow 0
		.amdhsa_exception_fp_ieee_inexact 0
		.amdhsa_exception_int_div_zero 0
	.end_amdhsa_kernel
	.section	.text._ZL22rocblas_sscal_2_kernelILi256EDF16_fPKDF16_PKPDF16_EviT2_lT3_lli,"axG",@progbits,_ZL22rocblas_sscal_2_kernelILi256EDF16_fPKDF16_PKPDF16_EviT2_lT3_lli,comdat
.Lfunc_end100:
	.size	_ZL22rocblas_sscal_2_kernelILi256EDF16_fPKDF16_PKPDF16_EviT2_lT3_lli, .Lfunc_end100-_ZL22rocblas_sscal_2_kernelILi256EDF16_fPKDF16_PKPDF16_EviT2_lT3_lli
                                        ; -- End function
	.set _ZL22rocblas_sscal_2_kernelILi256EDF16_fPKDF16_PKPDF16_EviT2_lT3_lli.num_vgpr, 6
	.set _ZL22rocblas_sscal_2_kernelILi256EDF16_fPKDF16_PKPDF16_EviT2_lT3_lli.num_agpr, 0
	.set _ZL22rocblas_sscal_2_kernelILi256EDF16_fPKDF16_PKPDF16_EviT2_lT3_lli.numbered_sgpr, 16
	.set _ZL22rocblas_sscal_2_kernelILi256EDF16_fPKDF16_PKPDF16_EviT2_lT3_lli.num_named_barrier, 0
	.set _ZL22rocblas_sscal_2_kernelILi256EDF16_fPKDF16_PKPDF16_EviT2_lT3_lli.private_seg_size, 0
	.set _ZL22rocblas_sscal_2_kernelILi256EDF16_fPKDF16_PKPDF16_EviT2_lT3_lli.uses_vcc, 1
	.set _ZL22rocblas_sscal_2_kernelILi256EDF16_fPKDF16_PKPDF16_EviT2_lT3_lli.uses_flat_scratch, 0
	.set _ZL22rocblas_sscal_2_kernelILi256EDF16_fPKDF16_PKPDF16_EviT2_lT3_lli.has_dyn_sized_stack, 0
	.set _ZL22rocblas_sscal_2_kernelILi256EDF16_fPKDF16_PKPDF16_EviT2_lT3_lli.has_recursion, 0
	.set _ZL22rocblas_sscal_2_kernelILi256EDF16_fPKDF16_PKPDF16_EviT2_lT3_lli.has_indirect_call, 0
	.section	.AMDGPU.csdata,"",@progbits
; Kernel info:
; codeLenInByte = 404
; TotalNumSgprs: 18
; NumVgprs: 6
; ScratchSize: 0
; MemoryBound: 0
; FloatMode: 240
; IeeeMode: 1
; LDSByteSize: 0 bytes/workgroup (compile time only)
; SGPRBlocks: 0
; VGPRBlocks: 0
; NumSGPRsForWavesPerEU: 18
; NumVGPRsForWavesPerEU: 6
; NamedBarCnt: 0
; Occupancy: 16
; WaveLimiterHint : 1
; COMPUTE_PGM_RSRC2:SCRATCH_EN: 0
; COMPUTE_PGM_RSRC2:USER_SGPR: 2
; COMPUTE_PGM_RSRC2:TRAP_HANDLER: 0
; COMPUTE_PGM_RSRC2:TGID_X_EN: 1
; COMPUTE_PGM_RSRC2:TGID_Y_EN: 0
; COMPUTE_PGM_RSRC2:TGID_Z_EN: 1
; COMPUTE_PGM_RSRC2:TIDIG_COMP_CNT: 0
	.section	.text._ZL22rocblas_sscal_2_kernelILi256EDF16_fDF16_PKPDF16_EviT2_lT3_lli,"axG",@progbits,_ZL22rocblas_sscal_2_kernelILi256EDF16_fDF16_PKPDF16_EviT2_lT3_lli,comdat
	.globl	_ZL22rocblas_sscal_2_kernelILi256EDF16_fDF16_PKPDF16_EviT2_lT3_lli ; -- Begin function _ZL22rocblas_sscal_2_kernelILi256EDF16_fDF16_PKPDF16_EviT2_lT3_lli
	.p2align	8
	.type	_ZL22rocblas_sscal_2_kernelILi256EDF16_fDF16_PKPDF16_EviT2_lT3_lli,@function
_ZL22rocblas_sscal_2_kernelILi256EDF16_fDF16_PKPDF16_EviT2_lT3_lli: ; @_ZL22rocblas_sscal_2_kernelILi256EDF16_fDF16_PKPDF16_EviT2_lT3_lli
; %bb.0:
	s_load_b32 s8, s[0:1], 0x28
	s_bfe_u32 s2, ttmp6, 0x40014
	s_lshr_b32 s3, ttmp7, 16
	s_add_co_i32 s2, s2, 1
	s_bfe_u32 s4, ttmp6, 0x40008
	s_mul_i32 s2, s3, s2
	s_getreg_b32 s10, hwreg(HW_REG_IB_STS2, 6, 4)
	s_add_co_i32 s4, s4, s2
	s_cmp_eq_u32 s10, 0
	s_cselect_b32 s9, s3, s4
	s_wait_kmcnt 0x0
	s_cmp_ge_u32 s9, s8
	s_cbranch_scc1 .LBB101_9
; %bb.1:
	s_clause 0x1
	s_load_b64 s[2:3], s[0:1], 0x0
	s_load_b128 s[4:7], s[0:1], 0x10
	s_bfe_u32 s11, ttmp6, 0x4000c
	s_wait_xcnt 0x0
	s_and_b32 s0, ttmp6, 15
	s_add_co_i32 s11, s11, 1
	v_dual_mov_b32 v1, 0 :: v_dual_lshlrev_b32 v0, 1, v0
	s_mul_i32 s1, ttmp9, s11
	s_delay_alu instid0(SALU_CYCLE_1) | instskip(SKIP_2) | instid1(SALU_CYCLE_1)
	s_add_co_i32 s0, s0, s1
	s_cmp_eq_u32 s10, 0
	s_cselect_b32 s0, ttmp9, s0
	v_lshl_or_b32 v0, s0, 9, v0
	s_delay_alu instid0(VALU_DEP_1)
	v_or_b32_e32 v2, 1, v0
	s_wait_kmcnt 0x0
	s_cmp_neq_f16 s3, 0x3c00
	s_cselect_b32 s1, -1, 0
	s_bitcmp1_b32 s2, 0
	s_cselect_b32 s10, -1, 0
	s_add_co_i32 s0, s2, -1
	s_lshl_b64 s[6:7], s[6:7], 1
	v_cmp_eq_u32_e32 vcc_lo, s0, v0
	v_cmp_gt_u32_e64 s0, s2, v2
	s_pack_ll_b32_b16 s2, s3, s3
	s_and_b32 s10, s10, vcc_lo
	s_branch .LBB101_4
.LBB101_2:                              ;   in Loop: Header=BB101_4 Depth=1
	s_wait_xcnt 0x0
	s_or_b32 exec_lo, exec_lo, s11
.LBB101_3:                              ;   in Loop: Header=BB101_4 Depth=1
	s_add_co_i32 s9, s9, 0x10000
	s_delay_alu instid0(SALU_CYCLE_1)
	s_cmp_lt_u32 s9, s8
	s_cbranch_scc0 .LBB101_9
.LBB101_4:                              ; =>This Inner Loop Header: Depth=1
	s_and_not1_b32 vcc_lo, exec_lo, s1
	s_cbranch_vccnz .LBB101_3
; %bb.5:                                ;   in Loop: Header=BB101_4 Depth=1
	s_load_b64 s[12:13], s[4:5], s9 offset:0x0 scale_offset
	s_wait_kmcnt 0x0
	s_add_nc_u64 s[12:13], s[12:13], s[6:7]
	s_delay_alu instid0(SALU_CYCLE_1)
	v_lshl_add_u64 v[2:3], v[0:1], 1, s[12:13]
	s_and_saveexec_b32 s11, s0
	s_cbranch_execz .LBB101_7
; %bb.6:                                ;   in Loop: Header=BB101_4 Depth=1
	flat_load_b32 v4, v[2:3]
	s_wait_loadcnt_dscnt 0x0
	v_pk_mul_f16 v4, s2, v4
	flat_store_b32 v[2:3], v4
.LBB101_7:                              ;   in Loop: Header=BB101_4 Depth=1
	s_wait_xcnt 0x0
	s_or_b32 exec_lo, exec_lo, s11
	s_and_saveexec_b32 s11, s10
	s_cbranch_execz .LBB101_2
; %bb.8:                                ;   in Loop: Header=BB101_4 Depth=1
	flat_load_u16 v4, v[2:3]
	s_wait_loadcnt_dscnt 0x0
	v_mul_f16_e32 v4, s3, v4
	flat_store_b16 v[2:3], v4
	s_branch .LBB101_2
.LBB101_9:
	s_endpgm
	.section	.rodata,"a",@progbits
	.p2align	6, 0x0
	.amdhsa_kernel _ZL22rocblas_sscal_2_kernelILi256EDF16_fDF16_PKPDF16_EviT2_lT3_lli
		.amdhsa_group_segment_fixed_size 0
		.amdhsa_private_segment_fixed_size 0
		.amdhsa_kernarg_size 44
		.amdhsa_user_sgpr_count 2
		.amdhsa_user_sgpr_dispatch_ptr 0
		.amdhsa_user_sgpr_queue_ptr 0
		.amdhsa_user_sgpr_kernarg_segment_ptr 1
		.amdhsa_user_sgpr_dispatch_id 0
		.amdhsa_user_sgpr_kernarg_preload_length 0
		.amdhsa_user_sgpr_kernarg_preload_offset 0
		.amdhsa_user_sgpr_private_segment_size 0
		.amdhsa_wavefront_size32 1
		.amdhsa_uses_dynamic_stack 0
		.amdhsa_enable_private_segment 0
		.amdhsa_system_sgpr_workgroup_id_x 1
		.amdhsa_system_sgpr_workgroup_id_y 0
		.amdhsa_system_sgpr_workgroup_id_z 1
		.amdhsa_system_sgpr_workgroup_info 0
		.amdhsa_system_vgpr_workitem_id 0
		.amdhsa_next_free_vgpr 5
		.amdhsa_next_free_sgpr 14
		.amdhsa_named_barrier_count 0
		.amdhsa_reserve_vcc 1
		.amdhsa_float_round_mode_32 0
		.amdhsa_float_round_mode_16_64 0
		.amdhsa_float_denorm_mode_32 3
		.amdhsa_float_denorm_mode_16_64 3
		.amdhsa_fp16_overflow 0
		.amdhsa_memory_ordered 1
		.amdhsa_forward_progress 1
		.amdhsa_inst_pref_size 3
		.amdhsa_round_robin_scheduling 0
		.amdhsa_exception_fp_ieee_invalid_op 0
		.amdhsa_exception_fp_denorm_src 0
		.amdhsa_exception_fp_ieee_div_zero 0
		.amdhsa_exception_fp_ieee_overflow 0
		.amdhsa_exception_fp_ieee_underflow 0
		.amdhsa_exception_fp_ieee_inexact 0
		.amdhsa_exception_int_div_zero 0
	.end_amdhsa_kernel
	.section	.text._ZL22rocblas_sscal_2_kernelILi256EDF16_fDF16_PKPDF16_EviT2_lT3_lli,"axG",@progbits,_ZL22rocblas_sscal_2_kernelILi256EDF16_fDF16_PKPDF16_EviT2_lT3_lli,comdat
.Lfunc_end101:
	.size	_ZL22rocblas_sscal_2_kernelILi256EDF16_fDF16_PKPDF16_EviT2_lT3_lli, .Lfunc_end101-_ZL22rocblas_sscal_2_kernelILi256EDF16_fDF16_PKPDF16_EviT2_lT3_lli
                                        ; -- End function
	.set _ZL22rocblas_sscal_2_kernelILi256EDF16_fDF16_PKPDF16_EviT2_lT3_lli.num_vgpr, 5
	.set _ZL22rocblas_sscal_2_kernelILi256EDF16_fDF16_PKPDF16_EviT2_lT3_lli.num_agpr, 0
	.set _ZL22rocblas_sscal_2_kernelILi256EDF16_fDF16_PKPDF16_EviT2_lT3_lli.numbered_sgpr, 14
	.set _ZL22rocblas_sscal_2_kernelILi256EDF16_fDF16_PKPDF16_EviT2_lT3_lli.num_named_barrier, 0
	.set _ZL22rocblas_sscal_2_kernelILi256EDF16_fDF16_PKPDF16_EviT2_lT3_lli.private_seg_size, 0
	.set _ZL22rocblas_sscal_2_kernelILi256EDF16_fDF16_PKPDF16_EviT2_lT3_lli.uses_vcc, 1
	.set _ZL22rocblas_sscal_2_kernelILi256EDF16_fDF16_PKPDF16_EviT2_lT3_lli.uses_flat_scratch, 0
	.set _ZL22rocblas_sscal_2_kernelILi256EDF16_fDF16_PKPDF16_EviT2_lT3_lli.has_dyn_sized_stack, 0
	.set _ZL22rocblas_sscal_2_kernelILi256EDF16_fDF16_PKPDF16_EviT2_lT3_lli.has_recursion, 0
	.set _ZL22rocblas_sscal_2_kernelILi256EDF16_fDF16_PKPDF16_EviT2_lT3_lli.has_indirect_call, 0
	.section	.AMDGPU.csdata,"",@progbits
; Kernel info:
; codeLenInByte = 368
; TotalNumSgprs: 16
; NumVgprs: 5
; ScratchSize: 0
; MemoryBound: 0
; FloatMode: 240
; IeeeMode: 1
; LDSByteSize: 0 bytes/workgroup (compile time only)
; SGPRBlocks: 0
; VGPRBlocks: 0
; NumSGPRsForWavesPerEU: 16
; NumVGPRsForWavesPerEU: 5
; NamedBarCnt: 0
; Occupancy: 16
; WaveLimiterHint : 1
; COMPUTE_PGM_RSRC2:SCRATCH_EN: 0
; COMPUTE_PGM_RSRC2:USER_SGPR: 2
; COMPUTE_PGM_RSRC2:TRAP_HANDLER: 0
; COMPUTE_PGM_RSRC2:TGID_X_EN: 1
; COMPUTE_PGM_RSRC2:TGID_Y_EN: 0
; COMPUTE_PGM_RSRC2:TGID_Z_EN: 1
; COMPUTE_PGM_RSRC2:TIDIG_COMP_CNT: 0
	.section	.text._ZL19rocblas_scal_kernelIiLi256EDF16_fPKDF16_PKPDF16_EviT3_lT4_lT_li,"axG",@progbits,_ZL19rocblas_scal_kernelIiLi256EDF16_fPKDF16_PKPDF16_EviT3_lT4_lT_li,comdat
	.globl	_ZL19rocblas_scal_kernelIiLi256EDF16_fPKDF16_PKPDF16_EviT3_lT4_lT_li ; -- Begin function _ZL19rocblas_scal_kernelIiLi256EDF16_fPKDF16_PKPDF16_EviT3_lT4_lT_li
	.p2align	8
	.type	_ZL19rocblas_scal_kernelIiLi256EDF16_fPKDF16_PKPDF16_EviT3_lT4_lT_li,@function
_ZL19rocblas_scal_kernelIiLi256EDF16_fPKDF16_PKPDF16_EviT3_lT4_lT_li: ; @_ZL19rocblas_scal_kernelIiLi256EDF16_fPKDF16_PKPDF16_EviT3_lT4_lT_li
; %bb.0:
	s_load_b32 s12, s[0:1], 0x38
	s_bfe_u32 s2, ttmp6, 0x40014
	s_lshr_b32 s3, ttmp7, 16
	s_add_co_i32 s2, s2, 1
	s_bfe_u32 s5, ttmp6, 0x40008
	s_mul_i32 s2, s3, s2
	s_getreg_b32 s4, hwreg(HW_REG_IB_STS2, 6, 4)
	s_add_co_i32 s5, s5, s2
	s_cmp_eq_u32 s4, 0
	s_cselect_b32 s2, s3, s5
	s_mov_b32 s3, 0
	s_wait_kmcnt 0x0
	s_cmp_ge_u32 s2, s12
	s_cbranch_scc1 .LBB102_5
; %bb.1:
	s_load_b32 s6, s[0:1], 0x28
	s_bfe_u32 s5, ttmp6, 0x4000c
	s_and_b32 s7, ttmp6, 15
	s_add_co_i32 s5, s5, 1
	v_mov_b32_e32 v1, 0
	s_mul_i32 s5, ttmp9, s5
	s_delay_alu instid0(SALU_CYCLE_1) | instskip(SKIP_4) | instid1(SALU_CYCLE_1)
	s_add_co_i32 s5, s7, s5
	s_wait_kmcnt 0x0
	s_ashr_i32 s7, s6, 31
	s_cmp_eq_u32 s4, 0
	s_cselect_b32 s4, ttmp9, s5
	v_lshl_or_b32 v0, s4, 8, v0
	s_delay_alu instid0(VALU_DEP_1)
	v_mul_u64_e32 v[2:3], s[6:7], v[0:1]
	s_clause 0x1
	s_load_b32 s13, s[0:1], 0x0
	s_load_b256 s[4:11], s[0:1], 0x8
	s_wait_kmcnt 0x0
	v_cmp_gt_u32_e32 vcc_lo, s13, v0
	s_lshl_b64 s[0:1], s[10:11], 1
	s_branch .LBB102_3
.LBB102_2:                              ;   in Loop: Header=BB102_3 Depth=1
	s_wait_xcnt 0x0
	s_or_b32 exec_lo, exec_lo, s10
	s_add_co_i32 s2, s2, 0x10000
	s_delay_alu instid0(SALU_CYCLE_1)
	s_cmp_lt_u32 s2, s12
	s_cbranch_scc0 .LBB102_5
.LBB102_3:                              ; =>This Inner Loop Header: Depth=1
	s_mul_u64 s[10:11], s[6:7], s[2:3]
	s_delay_alu instid0(SALU_CYCLE_1) | instskip(NEXT) | instid1(SALU_CYCLE_1)
	s_lshl_b64 s[10:11], s[10:11], 1
	s_add_nc_u64 s[10:11], s[4:5], s[10:11]
	global_load_u16 v0, v1, s[10:11]
	s_wait_loadcnt 0x0
	s_wait_xcnt 0x0
	v_readfirstlane_b32 s10, v0
	s_cmp_neq_f16 s10, 0x3c00
	s_cselect_b32 s10, -1, 0
	s_delay_alu instid0(SALU_CYCLE_1) | instskip(NEXT) | instid1(SALU_CYCLE_1)
	s_and_b32 s11, vcc_lo, s10
	s_and_saveexec_b32 s10, s11
	s_cbranch_execz .LBB102_2
; %bb.4:                                ;   in Loop: Header=BB102_3 Depth=1
	s_lshl_b64 s[14:15], s[2:3], 3
	s_delay_alu instid0(SALU_CYCLE_1) | instskip(SKIP_4) | instid1(SALU_CYCLE_1)
	s_add_nc_u64 s[14:15], s[8:9], s[14:15]
	s_load_b64 s[14:15], s[14:15], 0x0
	s_wait_kmcnt 0x0
	s_wait_xcnt 0x0
	s_add_nc_u64 s[14:15], s[14:15], s[0:1]
	v_lshl_add_u64 v[4:5], v[2:3], 1, s[14:15]
	flat_load_u16 v6, v[4:5]
	s_wait_loadcnt_dscnt 0x0
	v_mul_f16_e32 v0, v0, v6
	flat_store_b16 v[4:5], v0
	s_branch .LBB102_2
.LBB102_5:
	s_endpgm
	.section	.rodata,"a",@progbits
	.p2align	6, 0x0
	.amdhsa_kernel _ZL19rocblas_scal_kernelIiLi256EDF16_fPKDF16_PKPDF16_EviT3_lT4_lT_li
		.amdhsa_group_segment_fixed_size 0
		.amdhsa_private_segment_fixed_size 0
		.amdhsa_kernarg_size 60
		.amdhsa_user_sgpr_count 2
		.amdhsa_user_sgpr_dispatch_ptr 0
		.amdhsa_user_sgpr_queue_ptr 0
		.amdhsa_user_sgpr_kernarg_segment_ptr 1
		.amdhsa_user_sgpr_dispatch_id 0
		.amdhsa_user_sgpr_kernarg_preload_length 0
		.amdhsa_user_sgpr_kernarg_preload_offset 0
		.amdhsa_user_sgpr_private_segment_size 0
		.amdhsa_wavefront_size32 1
		.amdhsa_uses_dynamic_stack 0
		.amdhsa_enable_private_segment 0
		.amdhsa_system_sgpr_workgroup_id_x 1
		.amdhsa_system_sgpr_workgroup_id_y 0
		.amdhsa_system_sgpr_workgroup_id_z 1
		.amdhsa_system_sgpr_workgroup_info 0
		.amdhsa_system_vgpr_workitem_id 0
		.amdhsa_next_free_vgpr 7
		.amdhsa_next_free_sgpr 16
		.amdhsa_named_barrier_count 0
		.amdhsa_reserve_vcc 1
		.amdhsa_float_round_mode_32 0
		.amdhsa_float_round_mode_16_64 0
		.amdhsa_float_denorm_mode_32 3
		.amdhsa_float_denorm_mode_16_64 3
		.amdhsa_fp16_overflow 0
		.amdhsa_memory_ordered 1
		.amdhsa_forward_progress 1
		.amdhsa_inst_pref_size 3
		.amdhsa_round_robin_scheduling 0
		.amdhsa_exception_fp_ieee_invalid_op 0
		.amdhsa_exception_fp_denorm_src 0
		.amdhsa_exception_fp_ieee_div_zero 0
		.amdhsa_exception_fp_ieee_overflow 0
		.amdhsa_exception_fp_ieee_underflow 0
		.amdhsa_exception_fp_ieee_inexact 0
		.amdhsa_exception_int_div_zero 0
	.end_amdhsa_kernel
	.section	.text._ZL19rocblas_scal_kernelIiLi256EDF16_fPKDF16_PKPDF16_EviT3_lT4_lT_li,"axG",@progbits,_ZL19rocblas_scal_kernelIiLi256EDF16_fPKDF16_PKPDF16_EviT3_lT4_lT_li,comdat
.Lfunc_end102:
	.size	_ZL19rocblas_scal_kernelIiLi256EDF16_fPKDF16_PKPDF16_EviT3_lT4_lT_li, .Lfunc_end102-_ZL19rocblas_scal_kernelIiLi256EDF16_fPKDF16_PKPDF16_EviT3_lT4_lT_li
                                        ; -- End function
	.set _ZL19rocblas_scal_kernelIiLi256EDF16_fPKDF16_PKPDF16_EviT3_lT4_lT_li.num_vgpr, 7
	.set _ZL19rocblas_scal_kernelIiLi256EDF16_fPKDF16_PKPDF16_EviT3_lT4_lT_li.num_agpr, 0
	.set _ZL19rocblas_scal_kernelIiLi256EDF16_fPKDF16_PKPDF16_EviT3_lT4_lT_li.numbered_sgpr, 16
	.set _ZL19rocblas_scal_kernelIiLi256EDF16_fPKDF16_PKPDF16_EviT3_lT4_lT_li.num_named_barrier, 0
	.set _ZL19rocblas_scal_kernelIiLi256EDF16_fPKDF16_PKPDF16_EviT3_lT4_lT_li.private_seg_size, 0
	.set _ZL19rocblas_scal_kernelIiLi256EDF16_fPKDF16_PKPDF16_EviT3_lT4_lT_li.uses_vcc, 1
	.set _ZL19rocblas_scal_kernelIiLi256EDF16_fPKDF16_PKPDF16_EviT3_lT4_lT_li.uses_flat_scratch, 0
	.set _ZL19rocblas_scal_kernelIiLi256EDF16_fPKDF16_PKPDF16_EviT3_lT4_lT_li.has_dyn_sized_stack, 0
	.set _ZL19rocblas_scal_kernelIiLi256EDF16_fPKDF16_PKPDF16_EviT3_lT4_lT_li.has_recursion, 0
	.set _ZL19rocblas_scal_kernelIiLi256EDF16_fPKDF16_PKPDF16_EviT3_lT4_lT_li.has_indirect_call, 0
	.section	.AMDGPU.csdata,"",@progbits
; Kernel info:
; codeLenInByte = 352
; TotalNumSgprs: 18
; NumVgprs: 7
; ScratchSize: 0
; MemoryBound: 0
; FloatMode: 240
; IeeeMode: 1
; LDSByteSize: 0 bytes/workgroup (compile time only)
; SGPRBlocks: 0
; VGPRBlocks: 0
; NumSGPRsForWavesPerEU: 18
; NumVGPRsForWavesPerEU: 7
; NamedBarCnt: 0
; Occupancy: 16
; WaveLimiterHint : 1
; COMPUTE_PGM_RSRC2:SCRATCH_EN: 0
; COMPUTE_PGM_RSRC2:USER_SGPR: 2
; COMPUTE_PGM_RSRC2:TRAP_HANDLER: 0
; COMPUTE_PGM_RSRC2:TGID_X_EN: 1
; COMPUTE_PGM_RSRC2:TGID_Y_EN: 0
; COMPUTE_PGM_RSRC2:TGID_Z_EN: 1
; COMPUTE_PGM_RSRC2:TIDIG_COMP_CNT: 0
	.section	.text._ZL19rocblas_scal_kernelIiLi256EDF16_fDF16_PKPDF16_EviT3_lT4_lT_li,"axG",@progbits,_ZL19rocblas_scal_kernelIiLi256EDF16_fDF16_PKPDF16_EviT3_lT4_lT_li,comdat
	.globl	_ZL19rocblas_scal_kernelIiLi256EDF16_fDF16_PKPDF16_EviT3_lT4_lT_li ; -- Begin function _ZL19rocblas_scal_kernelIiLi256EDF16_fDF16_PKPDF16_EviT3_lT4_lT_li
	.p2align	8
	.type	_ZL19rocblas_scal_kernelIiLi256EDF16_fDF16_PKPDF16_EviT3_lT4_lT_li,@function
_ZL19rocblas_scal_kernelIiLi256EDF16_fDF16_PKPDF16_EviT3_lT4_lT_li: ; @_ZL19rocblas_scal_kernelIiLi256EDF16_fDF16_PKPDF16_EviT3_lT4_lT_li
; %bb.0:
	s_load_b32 s8, s[0:1], 0x30
	s_bfe_u32 s2, ttmp6, 0x40014
	s_lshr_b32 s3, ttmp7, 16
	s_add_co_i32 s2, s2, 1
	s_bfe_u32 s5, ttmp6, 0x40008
	s_mul_i32 s4, s3, s2
	s_getreg_b32 s2, hwreg(HW_REG_IB_STS2, 6, 4)
	s_add_co_i32 s5, s5, s4
	s_cmp_eq_u32 s2, 0
	s_cselect_b32 s9, s3, s5
	s_wait_kmcnt 0x0
	s_cmp_ge_u32 s9, s8
	s_cbranch_scc1 .LBB103_5
; %bb.1:
	s_load_b32 s4, s[0:1], 0x20
	s_bfe_u32 s3, ttmp6, 0x4000c
	s_and_b32 s5, ttmp6, 15
	s_add_co_i32 s3, s3, 1
	v_mov_b32_e32 v3, 0
	s_mul_i32 s3, ttmp9, s3
	s_delay_alu instid0(SALU_CYCLE_1) | instskip(SKIP_4) | instid1(SALU_CYCLE_1)
	s_add_co_i32 s3, s5, s3
	s_wait_kmcnt 0x0
	s_ashr_i32 s5, s4, 31
	s_cmp_eq_u32 s2, 0
	s_cselect_b32 s2, ttmp9, s3
	v_lshl_or_b32 v2, s2, 8, v0
	s_delay_alu instid0(VALU_DEP_1)
	v_mul_u64_e32 v[0:1], s[4:5], v[2:3]
	s_clause 0x1
	s_load_b64 s[2:3], s[0:1], 0x0
	s_load_b128 s[4:7], s[0:1], 0x10
	s_wait_kmcnt 0x0
	s_cmp_neq_f16 s3, 0x3c00
	v_cmp_gt_u32_e32 vcc_lo, s2, v2
	s_cselect_b32 s0, -1, 0
	s_delay_alu instid0(SALU_CYCLE_1)
	s_and_b32 s2, vcc_lo, s0
	s_lshl_b64 s[0:1], s[6:7], 1
	s_branch .LBB103_3
.LBB103_2:                              ;   in Loop: Header=BB103_3 Depth=1
	s_wait_xcnt 0x0
	s_or_b32 exec_lo, exec_lo, s6
	s_add_co_i32 s9, s9, 0x10000
	s_delay_alu instid0(SALU_CYCLE_1)
	s_cmp_lt_u32 s9, s8
	s_cbranch_scc0 .LBB103_5
.LBB103_3:                              ; =>This Inner Loop Header: Depth=1
	s_and_saveexec_b32 s6, s2
	s_cbranch_execz .LBB103_2
; %bb.4:                                ;   in Loop: Header=BB103_3 Depth=1
	s_load_b64 s[10:11], s[4:5], s9 offset:0x0 scale_offset
	s_wait_kmcnt 0x0
	s_add_nc_u64 s[10:11], s[10:11], s[0:1]
	s_delay_alu instid0(VALU_DEP_2) | instid1(SALU_CYCLE_1)
	v_lshl_add_u64 v[2:3], v[0:1], 1, s[10:11]
	flat_load_u16 v4, v[2:3]
	s_wait_loadcnt_dscnt 0x0
	v_mul_f16_e32 v4, s3, v4
	flat_store_b16 v[2:3], v4
	s_branch .LBB103_2
.LBB103_5:
	s_endpgm
	.section	.rodata,"a",@progbits
	.p2align	6, 0x0
	.amdhsa_kernel _ZL19rocblas_scal_kernelIiLi256EDF16_fDF16_PKPDF16_EviT3_lT4_lT_li
		.amdhsa_group_segment_fixed_size 0
		.amdhsa_private_segment_fixed_size 0
		.amdhsa_kernarg_size 52
		.amdhsa_user_sgpr_count 2
		.amdhsa_user_sgpr_dispatch_ptr 0
		.amdhsa_user_sgpr_queue_ptr 0
		.amdhsa_user_sgpr_kernarg_segment_ptr 1
		.amdhsa_user_sgpr_dispatch_id 0
		.amdhsa_user_sgpr_kernarg_preload_length 0
		.amdhsa_user_sgpr_kernarg_preload_offset 0
		.amdhsa_user_sgpr_private_segment_size 0
		.amdhsa_wavefront_size32 1
		.amdhsa_uses_dynamic_stack 0
		.amdhsa_enable_private_segment 0
		.amdhsa_system_sgpr_workgroup_id_x 1
		.amdhsa_system_sgpr_workgroup_id_y 0
		.amdhsa_system_sgpr_workgroup_id_z 1
		.amdhsa_system_sgpr_workgroup_info 0
		.amdhsa_system_vgpr_workitem_id 0
		.amdhsa_next_free_vgpr 5
		.amdhsa_next_free_sgpr 12
		.amdhsa_named_barrier_count 0
		.amdhsa_reserve_vcc 1
		.amdhsa_float_round_mode_32 0
		.amdhsa_float_round_mode_16_64 0
		.amdhsa_float_denorm_mode_32 3
		.amdhsa_float_denorm_mode_16_64 3
		.amdhsa_fp16_overflow 0
		.amdhsa_memory_ordered 1
		.amdhsa_forward_progress 1
		.amdhsa_inst_pref_size 3
		.amdhsa_round_robin_scheduling 0
		.amdhsa_exception_fp_ieee_invalid_op 0
		.amdhsa_exception_fp_denorm_src 0
		.amdhsa_exception_fp_ieee_div_zero 0
		.amdhsa_exception_fp_ieee_overflow 0
		.amdhsa_exception_fp_ieee_underflow 0
		.amdhsa_exception_fp_ieee_inexact 0
		.amdhsa_exception_int_div_zero 0
	.end_amdhsa_kernel
	.section	.text._ZL19rocblas_scal_kernelIiLi256EDF16_fDF16_PKPDF16_EviT3_lT4_lT_li,"axG",@progbits,_ZL19rocblas_scal_kernelIiLi256EDF16_fDF16_PKPDF16_EviT3_lT4_lT_li,comdat
.Lfunc_end103:
	.size	_ZL19rocblas_scal_kernelIiLi256EDF16_fDF16_PKPDF16_EviT3_lT4_lT_li, .Lfunc_end103-_ZL19rocblas_scal_kernelIiLi256EDF16_fDF16_PKPDF16_EviT3_lT4_lT_li
                                        ; -- End function
	.set _ZL19rocblas_scal_kernelIiLi256EDF16_fDF16_PKPDF16_EviT3_lT4_lT_li.num_vgpr, 5
	.set _ZL19rocblas_scal_kernelIiLi256EDF16_fDF16_PKPDF16_EviT3_lT4_lT_li.num_agpr, 0
	.set _ZL19rocblas_scal_kernelIiLi256EDF16_fDF16_PKPDF16_EviT3_lT4_lT_li.numbered_sgpr, 12
	.set _ZL19rocblas_scal_kernelIiLi256EDF16_fDF16_PKPDF16_EviT3_lT4_lT_li.num_named_barrier, 0
	.set _ZL19rocblas_scal_kernelIiLi256EDF16_fDF16_PKPDF16_EviT3_lT4_lT_li.private_seg_size, 0
	.set _ZL19rocblas_scal_kernelIiLi256EDF16_fDF16_PKPDF16_EviT3_lT4_lT_li.uses_vcc, 1
	.set _ZL19rocblas_scal_kernelIiLi256EDF16_fDF16_PKPDF16_EviT3_lT4_lT_li.uses_flat_scratch, 0
	.set _ZL19rocblas_scal_kernelIiLi256EDF16_fDF16_PKPDF16_EviT3_lT4_lT_li.has_dyn_sized_stack, 0
	.set _ZL19rocblas_scal_kernelIiLi256EDF16_fDF16_PKPDF16_EviT3_lT4_lT_li.has_recursion, 0
	.set _ZL19rocblas_scal_kernelIiLi256EDF16_fDF16_PKPDF16_EviT3_lT4_lT_li.has_indirect_call, 0
	.section	.AMDGPU.csdata,"",@progbits
; Kernel info:
; codeLenInByte = 296
; TotalNumSgprs: 14
; NumVgprs: 5
; ScratchSize: 0
; MemoryBound: 0
; FloatMode: 240
; IeeeMode: 1
; LDSByteSize: 0 bytes/workgroup (compile time only)
; SGPRBlocks: 0
; VGPRBlocks: 0
; NumSGPRsForWavesPerEU: 14
; NumVGPRsForWavesPerEU: 5
; NamedBarCnt: 0
; Occupancy: 16
; WaveLimiterHint : 1
; COMPUTE_PGM_RSRC2:SCRATCH_EN: 0
; COMPUTE_PGM_RSRC2:USER_SGPR: 2
; COMPUTE_PGM_RSRC2:TRAP_HANDLER: 0
; COMPUTE_PGM_RSRC2:TGID_X_EN: 1
; COMPUTE_PGM_RSRC2:TGID_Y_EN: 0
; COMPUTE_PGM_RSRC2:TGID_Z_EN: 1
; COMPUTE_PGM_RSRC2:TIDIG_COMP_CNT: 0
	.section	.text._ZL19rocblas_scal_kernelIlLi256EDF16_fPKDF16_PKPDF16_EviT3_lT4_lT_li,"axG",@progbits,_ZL19rocblas_scal_kernelIlLi256EDF16_fPKDF16_PKPDF16_EviT3_lT4_lT_li,comdat
	.globl	_ZL19rocblas_scal_kernelIlLi256EDF16_fPKDF16_PKPDF16_EviT3_lT4_lT_li ; -- Begin function _ZL19rocblas_scal_kernelIlLi256EDF16_fPKDF16_PKPDF16_EviT3_lT4_lT_li
	.p2align	8
	.type	_ZL19rocblas_scal_kernelIlLi256EDF16_fPKDF16_PKPDF16_EviT3_lT4_lT_li,@function
_ZL19rocblas_scal_kernelIlLi256EDF16_fPKDF16_PKPDF16_EviT3_lT4_lT_li: ; @_ZL19rocblas_scal_kernelIlLi256EDF16_fPKDF16_PKPDF16_EviT3_lT4_lT_li
; %bb.0:
	s_load_b32 s12, s[0:1], 0x38
	s_bfe_u32 s2, ttmp6, 0x40014
	s_lshr_b32 s3, ttmp7, 16
	s_add_co_i32 s2, s2, 1
	s_bfe_u32 s5, ttmp6, 0x40008
	s_mul_i32 s2, s3, s2
	s_getreg_b32 s4, hwreg(HW_REG_IB_STS2, 6, 4)
	s_add_co_i32 s5, s5, s2
	s_cmp_eq_u32 s4, 0
	s_cselect_b32 s2, s3, s5
	s_mov_b32 s3, 0
	s_wait_kmcnt 0x0
	s_cmp_ge_u32 s2, s12
	s_cbranch_scc1 .LBB104_5
; %bb.1:
	s_load_b64 s[6:7], s[0:1], 0x28
	s_bfe_u32 s5, ttmp6, 0x4000c
	s_and_b32 s8, ttmp6, 15
	s_add_co_i32 s5, s5, 1
	v_mov_b32_e32 v1, 0
	s_mul_i32 s5, ttmp9, s5
	s_delay_alu instid0(SALU_CYCLE_1) | instskip(SKIP_2) | instid1(SALU_CYCLE_1)
	s_add_co_i32 s8, s8, s5
	s_cmp_eq_u32 s4, 0
	s_cselect_b32 s4, ttmp9, s8
	v_lshl_or_b32 v0, s4, 8, v0
	s_wait_kmcnt 0x0
	s_delay_alu instid0(VALU_DEP_1)
	v_mul_u64_e32 v[2:3], s[6:7], v[0:1]
	s_clause 0x1
	s_load_b32 s13, s[0:1], 0x0
	s_load_b256 s[4:11], s[0:1], 0x8
	s_wait_kmcnt 0x0
	v_cmp_gt_u32_e32 vcc_lo, s13, v0
	s_lshl_b64 s[0:1], s[10:11], 1
	s_branch .LBB104_3
.LBB104_2:                              ;   in Loop: Header=BB104_3 Depth=1
	s_wait_xcnt 0x0
	s_or_b32 exec_lo, exec_lo, s10
	s_add_co_i32 s2, s2, 0x10000
	s_delay_alu instid0(SALU_CYCLE_1)
	s_cmp_lt_u32 s2, s12
	s_cbranch_scc0 .LBB104_5
.LBB104_3:                              ; =>This Inner Loop Header: Depth=1
	s_mul_u64 s[10:11], s[6:7], s[2:3]
	s_delay_alu instid0(SALU_CYCLE_1) | instskip(NEXT) | instid1(SALU_CYCLE_1)
	s_lshl_b64 s[10:11], s[10:11], 1
	s_add_nc_u64 s[10:11], s[4:5], s[10:11]
	global_load_u16 v0, v1, s[10:11]
	s_wait_loadcnt 0x0
	s_wait_xcnt 0x0
	v_readfirstlane_b32 s10, v0
	s_cmp_neq_f16 s10, 0x3c00
	s_cselect_b32 s10, -1, 0
	s_delay_alu instid0(SALU_CYCLE_1) | instskip(NEXT) | instid1(SALU_CYCLE_1)
	s_and_b32 s11, vcc_lo, s10
	s_and_saveexec_b32 s10, s11
	s_cbranch_execz .LBB104_2
; %bb.4:                                ;   in Loop: Header=BB104_3 Depth=1
	s_lshl_b64 s[14:15], s[2:3], 3
	s_delay_alu instid0(SALU_CYCLE_1) | instskip(SKIP_4) | instid1(SALU_CYCLE_1)
	s_add_nc_u64 s[14:15], s[8:9], s[14:15]
	s_load_b64 s[14:15], s[14:15], 0x0
	s_wait_kmcnt 0x0
	s_wait_xcnt 0x0
	s_add_nc_u64 s[14:15], s[14:15], s[0:1]
	v_lshl_add_u64 v[4:5], v[2:3], 1, s[14:15]
	flat_load_u16 v6, v[4:5]
	s_wait_loadcnt_dscnt 0x0
	v_mul_f16_e32 v0, v0, v6
	flat_store_b16 v[4:5], v0
	s_branch .LBB104_2
.LBB104_5:
	s_endpgm
	.section	.rodata,"a",@progbits
	.p2align	6, 0x0
	.amdhsa_kernel _ZL19rocblas_scal_kernelIlLi256EDF16_fPKDF16_PKPDF16_EviT3_lT4_lT_li
		.amdhsa_group_segment_fixed_size 0
		.amdhsa_private_segment_fixed_size 0
		.amdhsa_kernarg_size 60
		.amdhsa_user_sgpr_count 2
		.amdhsa_user_sgpr_dispatch_ptr 0
		.amdhsa_user_sgpr_queue_ptr 0
		.amdhsa_user_sgpr_kernarg_segment_ptr 1
		.amdhsa_user_sgpr_dispatch_id 0
		.amdhsa_user_sgpr_kernarg_preload_length 0
		.amdhsa_user_sgpr_kernarg_preload_offset 0
		.amdhsa_user_sgpr_private_segment_size 0
		.amdhsa_wavefront_size32 1
		.amdhsa_uses_dynamic_stack 0
		.amdhsa_enable_private_segment 0
		.amdhsa_system_sgpr_workgroup_id_x 1
		.amdhsa_system_sgpr_workgroup_id_y 0
		.amdhsa_system_sgpr_workgroup_id_z 1
		.amdhsa_system_sgpr_workgroup_info 0
		.amdhsa_system_vgpr_workitem_id 0
		.amdhsa_next_free_vgpr 7
		.amdhsa_next_free_sgpr 16
		.amdhsa_named_barrier_count 0
		.amdhsa_reserve_vcc 1
		.amdhsa_float_round_mode_32 0
		.amdhsa_float_round_mode_16_64 0
		.amdhsa_float_denorm_mode_32 3
		.amdhsa_float_denorm_mode_16_64 3
		.amdhsa_fp16_overflow 0
		.amdhsa_memory_ordered 1
		.amdhsa_forward_progress 1
		.amdhsa_inst_pref_size 3
		.amdhsa_round_robin_scheduling 0
		.amdhsa_exception_fp_ieee_invalid_op 0
		.amdhsa_exception_fp_denorm_src 0
		.amdhsa_exception_fp_ieee_div_zero 0
		.amdhsa_exception_fp_ieee_overflow 0
		.amdhsa_exception_fp_ieee_underflow 0
		.amdhsa_exception_fp_ieee_inexact 0
		.amdhsa_exception_int_div_zero 0
	.end_amdhsa_kernel
	.section	.text._ZL19rocblas_scal_kernelIlLi256EDF16_fPKDF16_PKPDF16_EviT3_lT4_lT_li,"axG",@progbits,_ZL19rocblas_scal_kernelIlLi256EDF16_fPKDF16_PKPDF16_EviT3_lT4_lT_li,comdat
.Lfunc_end104:
	.size	_ZL19rocblas_scal_kernelIlLi256EDF16_fPKDF16_PKPDF16_EviT3_lT4_lT_li, .Lfunc_end104-_ZL19rocblas_scal_kernelIlLi256EDF16_fPKDF16_PKPDF16_EviT3_lT4_lT_li
                                        ; -- End function
	.set _ZL19rocblas_scal_kernelIlLi256EDF16_fPKDF16_PKPDF16_EviT3_lT4_lT_li.num_vgpr, 7
	.set _ZL19rocblas_scal_kernelIlLi256EDF16_fPKDF16_PKPDF16_EviT3_lT4_lT_li.num_agpr, 0
	.set _ZL19rocblas_scal_kernelIlLi256EDF16_fPKDF16_PKPDF16_EviT3_lT4_lT_li.numbered_sgpr, 16
	.set _ZL19rocblas_scal_kernelIlLi256EDF16_fPKDF16_PKPDF16_EviT3_lT4_lT_li.num_named_barrier, 0
	.set _ZL19rocblas_scal_kernelIlLi256EDF16_fPKDF16_PKPDF16_EviT3_lT4_lT_li.private_seg_size, 0
	.set _ZL19rocblas_scal_kernelIlLi256EDF16_fPKDF16_PKPDF16_EviT3_lT4_lT_li.uses_vcc, 1
	.set _ZL19rocblas_scal_kernelIlLi256EDF16_fPKDF16_PKPDF16_EviT3_lT4_lT_li.uses_flat_scratch, 0
	.set _ZL19rocblas_scal_kernelIlLi256EDF16_fPKDF16_PKPDF16_EviT3_lT4_lT_li.has_dyn_sized_stack, 0
	.set _ZL19rocblas_scal_kernelIlLi256EDF16_fPKDF16_PKPDF16_EviT3_lT4_lT_li.has_recursion, 0
	.set _ZL19rocblas_scal_kernelIlLi256EDF16_fPKDF16_PKPDF16_EviT3_lT4_lT_li.has_indirect_call, 0
	.section	.AMDGPU.csdata,"",@progbits
; Kernel info:
; codeLenInByte = 348
; TotalNumSgprs: 18
; NumVgprs: 7
; ScratchSize: 0
; MemoryBound: 0
; FloatMode: 240
; IeeeMode: 1
; LDSByteSize: 0 bytes/workgroup (compile time only)
; SGPRBlocks: 0
; VGPRBlocks: 0
; NumSGPRsForWavesPerEU: 18
; NumVGPRsForWavesPerEU: 7
; NamedBarCnt: 0
; Occupancy: 16
; WaveLimiterHint : 1
; COMPUTE_PGM_RSRC2:SCRATCH_EN: 0
; COMPUTE_PGM_RSRC2:USER_SGPR: 2
; COMPUTE_PGM_RSRC2:TRAP_HANDLER: 0
; COMPUTE_PGM_RSRC2:TGID_X_EN: 1
; COMPUTE_PGM_RSRC2:TGID_Y_EN: 0
; COMPUTE_PGM_RSRC2:TGID_Z_EN: 1
; COMPUTE_PGM_RSRC2:TIDIG_COMP_CNT: 0
	.section	.text._ZL19rocblas_scal_kernelIlLi256EDF16_fDF16_PKPDF16_EviT3_lT4_lT_li,"axG",@progbits,_ZL19rocblas_scal_kernelIlLi256EDF16_fDF16_PKPDF16_EviT3_lT4_lT_li,comdat
	.globl	_ZL19rocblas_scal_kernelIlLi256EDF16_fDF16_PKPDF16_EviT3_lT4_lT_li ; -- Begin function _ZL19rocblas_scal_kernelIlLi256EDF16_fDF16_PKPDF16_EviT3_lT4_lT_li
	.p2align	8
	.type	_ZL19rocblas_scal_kernelIlLi256EDF16_fDF16_PKPDF16_EviT3_lT4_lT_li,@function
_ZL19rocblas_scal_kernelIlLi256EDF16_fDF16_PKPDF16_EviT3_lT4_lT_li: ; @_ZL19rocblas_scal_kernelIlLi256EDF16_fDF16_PKPDF16_EviT3_lT4_lT_li
; %bb.0:
	s_load_b32 s8, s[0:1], 0x30
	s_bfe_u32 s2, ttmp6, 0x40014
	s_lshr_b32 s3, ttmp7, 16
	s_add_co_i32 s2, s2, 1
	s_bfe_u32 s5, ttmp6, 0x40008
	s_mul_i32 s4, s3, s2
	s_getreg_b32 s2, hwreg(HW_REG_IB_STS2, 6, 4)
	s_add_co_i32 s5, s5, s4
	s_cmp_eq_u32 s2, 0
	s_cselect_b32 s9, s3, s5
	s_wait_kmcnt 0x0
	s_cmp_ge_u32 s9, s8
	s_cbranch_scc1 .LBB105_5
; %bb.1:
	s_load_b64 s[4:5], s[0:1], 0x20
	s_bfe_u32 s3, ttmp6, 0x4000c
	s_and_b32 s6, ttmp6, 15
	s_add_co_i32 s3, s3, 1
	v_mov_b32_e32 v3, 0
	s_mul_i32 s3, ttmp9, s3
	s_delay_alu instid0(SALU_CYCLE_1) | instskip(SKIP_2) | instid1(SALU_CYCLE_1)
	s_add_co_i32 s6, s6, s3
	s_cmp_eq_u32 s2, 0
	s_cselect_b32 s2, ttmp9, s6
	v_lshl_or_b32 v2, s2, 8, v0
	s_wait_kmcnt 0x0
	s_delay_alu instid0(VALU_DEP_1)
	v_mul_u64_e32 v[0:1], s[4:5], v[2:3]
	s_clause 0x1
	s_load_b64 s[2:3], s[0:1], 0x0
	s_load_b128 s[4:7], s[0:1], 0x10
	s_wait_kmcnt 0x0
	s_cmp_neq_f16 s3, 0x3c00
	v_cmp_gt_u32_e32 vcc_lo, s2, v2
	s_cselect_b32 s0, -1, 0
	s_delay_alu instid0(SALU_CYCLE_1)
	s_and_b32 s2, vcc_lo, s0
	s_lshl_b64 s[0:1], s[6:7], 1
	s_branch .LBB105_3
.LBB105_2:                              ;   in Loop: Header=BB105_3 Depth=1
	s_wait_xcnt 0x0
	s_or_b32 exec_lo, exec_lo, s6
	s_add_co_i32 s9, s9, 0x10000
	s_delay_alu instid0(SALU_CYCLE_1)
	s_cmp_lt_u32 s9, s8
	s_cbranch_scc0 .LBB105_5
.LBB105_3:                              ; =>This Inner Loop Header: Depth=1
	s_and_saveexec_b32 s6, s2
	s_cbranch_execz .LBB105_2
; %bb.4:                                ;   in Loop: Header=BB105_3 Depth=1
	s_load_b64 s[10:11], s[4:5], s9 offset:0x0 scale_offset
	s_wait_kmcnt 0x0
	s_add_nc_u64 s[10:11], s[10:11], s[0:1]
	s_delay_alu instid0(VALU_DEP_2) | instid1(SALU_CYCLE_1)
	v_lshl_add_u64 v[2:3], v[0:1], 1, s[10:11]
	flat_load_u16 v4, v[2:3]
	s_wait_loadcnt_dscnt 0x0
	v_mul_f16_e32 v4, s3, v4
	flat_store_b16 v[2:3], v4
	s_branch .LBB105_2
.LBB105_5:
	s_endpgm
	.section	.rodata,"a",@progbits
	.p2align	6, 0x0
	.amdhsa_kernel _ZL19rocblas_scal_kernelIlLi256EDF16_fDF16_PKPDF16_EviT3_lT4_lT_li
		.amdhsa_group_segment_fixed_size 0
		.amdhsa_private_segment_fixed_size 0
		.amdhsa_kernarg_size 52
		.amdhsa_user_sgpr_count 2
		.amdhsa_user_sgpr_dispatch_ptr 0
		.amdhsa_user_sgpr_queue_ptr 0
		.amdhsa_user_sgpr_kernarg_segment_ptr 1
		.amdhsa_user_sgpr_dispatch_id 0
		.amdhsa_user_sgpr_kernarg_preload_length 0
		.amdhsa_user_sgpr_kernarg_preload_offset 0
		.amdhsa_user_sgpr_private_segment_size 0
		.amdhsa_wavefront_size32 1
		.amdhsa_uses_dynamic_stack 0
		.amdhsa_enable_private_segment 0
		.amdhsa_system_sgpr_workgroup_id_x 1
		.amdhsa_system_sgpr_workgroup_id_y 0
		.amdhsa_system_sgpr_workgroup_id_z 1
		.amdhsa_system_sgpr_workgroup_info 0
		.amdhsa_system_vgpr_workitem_id 0
		.amdhsa_next_free_vgpr 5
		.amdhsa_next_free_sgpr 12
		.amdhsa_named_barrier_count 0
		.amdhsa_reserve_vcc 1
		.amdhsa_float_round_mode_32 0
		.amdhsa_float_round_mode_16_64 0
		.amdhsa_float_denorm_mode_32 3
		.amdhsa_float_denorm_mode_16_64 3
		.amdhsa_fp16_overflow 0
		.amdhsa_memory_ordered 1
		.amdhsa_forward_progress 1
		.amdhsa_inst_pref_size 3
		.amdhsa_round_robin_scheduling 0
		.amdhsa_exception_fp_ieee_invalid_op 0
		.amdhsa_exception_fp_denorm_src 0
		.amdhsa_exception_fp_ieee_div_zero 0
		.amdhsa_exception_fp_ieee_overflow 0
		.amdhsa_exception_fp_ieee_underflow 0
		.amdhsa_exception_fp_ieee_inexact 0
		.amdhsa_exception_int_div_zero 0
	.end_amdhsa_kernel
	.section	.text._ZL19rocblas_scal_kernelIlLi256EDF16_fDF16_PKPDF16_EviT3_lT4_lT_li,"axG",@progbits,_ZL19rocblas_scal_kernelIlLi256EDF16_fDF16_PKPDF16_EviT3_lT4_lT_li,comdat
.Lfunc_end105:
	.size	_ZL19rocblas_scal_kernelIlLi256EDF16_fDF16_PKPDF16_EviT3_lT4_lT_li, .Lfunc_end105-_ZL19rocblas_scal_kernelIlLi256EDF16_fDF16_PKPDF16_EviT3_lT4_lT_li
                                        ; -- End function
	.set _ZL19rocblas_scal_kernelIlLi256EDF16_fDF16_PKPDF16_EviT3_lT4_lT_li.num_vgpr, 5
	.set _ZL19rocblas_scal_kernelIlLi256EDF16_fDF16_PKPDF16_EviT3_lT4_lT_li.num_agpr, 0
	.set _ZL19rocblas_scal_kernelIlLi256EDF16_fDF16_PKPDF16_EviT3_lT4_lT_li.numbered_sgpr, 12
	.set _ZL19rocblas_scal_kernelIlLi256EDF16_fDF16_PKPDF16_EviT3_lT4_lT_li.num_named_barrier, 0
	.set _ZL19rocblas_scal_kernelIlLi256EDF16_fDF16_PKPDF16_EviT3_lT4_lT_li.private_seg_size, 0
	.set _ZL19rocblas_scal_kernelIlLi256EDF16_fDF16_PKPDF16_EviT3_lT4_lT_li.uses_vcc, 1
	.set _ZL19rocblas_scal_kernelIlLi256EDF16_fDF16_PKPDF16_EviT3_lT4_lT_li.uses_flat_scratch, 0
	.set _ZL19rocblas_scal_kernelIlLi256EDF16_fDF16_PKPDF16_EviT3_lT4_lT_li.has_dyn_sized_stack, 0
	.set _ZL19rocblas_scal_kernelIlLi256EDF16_fDF16_PKPDF16_EviT3_lT4_lT_li.has_recursion, 0
	.set _ZL19rocblas_scal_kernelIlLi256EDF16_fDF16_PKPDF16_EviT3_lT4_lT_li.has_indirect_call, 0
	.section	.AMDGPU.csdata,"",@progbits
; Kernel info:
; codeLenInByte = 292
; TotalNumSgprs: 14
; NumVgprs: 5
; ScratchSize: 0
; MemoryBound: 0
; FloatMode: 240
; IeeeMode: 1
; LDSByteSize: 0 bytes/workgroup (compile time only)
; SGPRBlocks: 0
; VGPRBlocks: 0
; NumSGPRsForWavesPerEU: 14
; NumVGPRsForWavesPerEU: 5
; NamedBarCnt: 0
; Occupancy: 16
; WaveLimiterHint : 1
; COMPUTE_PGM_RSRC2:SCRATCH_EN: 0
; COMPUTE_PGM_RSRC2:USER_SGPR: 2
; COMPUTE_PGM_RSRC2:TRAP_HANDLER: 0
; COMPUTE_PGM_RSRC2:TGID_X_EN: 1
; COMPUTE_PGM_RSRC2:TGID_Y_EN: 0
; COMPUTE_PGM_RSRC2:TGID_Z_EN: 1
; COMPUTE_PGM_RSRC2:TIDIG_COMP_CNT: 0
	.section	.text._ZL22rocblas_sscal_2_kernelILi256EDF16_fPKfPKPDF16_EviT2_lT3_lli,"axG",@progbits,_ZL22rocblas_sscal_2_kernelILi256EDF16_fPKfPKPDF16_EviT2_lT3_lli,comdat
	.globl	_ZL22rocblas_sscal_2_kernelILi256EDF16_fPKfPKPDF16_EviT2_lT3_lli ; -- Begin function _ZL22rocblas_sscal_2_kernelILi256EDF16_fPKfPKPDF16_EviT2_lT3_lli
	.p2align	8
	.type	_ZL22rocblas_sscal_2_kernelILi256EDF16_fPKfPKPDF16_EviT2_lT3_lli,@function
_ZL22rocblas_sscal_2_kernelILi256EDF16_fPKfPKPDF16_EviT2_lT3_lli: ; @_ZL22rocblas_sscal_2_kernelILi256EDF16_fPKfPKPDF16_EviT2_lT3_lli
; %bb.0:
	s_load_b32 s12, s[0:1], 0x30
	s_bfe_u32 s2, ttmp6, 0x40014
	s_lshr_b32 s3, ttmp7, 16
	s_add_co_i32 s2, s2, 1
	s_bfe_u32 s4, ttmp6, 0x40008
	s_mul_i32 s2, s3, s2
	s_getreg_b32 s13, hwreg(HW_REG_IB_STS2, 6, 4)
	s_add_co_i32 s4, s4, s2
	s_cmp_eq_u32 s13, 0
	s_cselect_b32 s2, s3, s4
	s_mov_b32 s3, 0
	s_wait_kmcnt 0x0
	s_cmp_ge_u32 s2, s12
	s_cbranch_scc1 .LBB106_9
; %bb.1:
	s_load_b32 s14, s[0:1], 0x0
	s_bfe_u32 s15, ttmp6, 0x4000c
	s_load_b256 s[4:11], s[0:1], 0x8
	s_add_co_i32 s15, s15, 1
	s_wait_xcnt 0x0
	s_and_b32 s0, ttmp6, 15
	s_mul_i32 s1, ttmp9, s15
	v_dual_mov_b32 v1, 0 :: v_dual_lshlrev_b32 v0, 1, v0
	s_add_co_i32 s0, s0, s1
	s_cmp_eq_u32 s13, 0
	s_cselect_b32 s0, ttmp9, s0
	s_delay_alu instid0(VALU_DEP_1) | instid1(SALU_CYCLE_1)
	v_lshl_or_b32 v0, s0, 9, v0
	s_delay_alu instid0(VALU_DEP_1)
	v_or_b32_e32 v2, 1, v0
	s_wait_kmcnt 0x0
	s_bitcmp1_b32 s14, 0
	s_cselect_b32 s1, -1, 0
	s_add_co_i32 s0, s14, -1
	v_cmp_gt_u32_e32 vcc_lo, s14, v2
	v_cmp_eq_u32_e64 s0, s0, v0
	s_and_b32 s13, s1, s0
	s_lshl_b64 s[0:1], s[10:11], 1
	s_branch .LBB106_4
.LBB106_2:                              ;   in Loop: Header=BB106_4 Depth=1
	s_wait_xcnt 0x0
	s_or_b32 exec_lo, exec_lo, s11
.LBB106_3:                              ;   in Loop: Header=BB106_4 Depth=1
	s_add_co_i32 s2, s2, 0x10000
	s_delay_alu instid0(SALU_CYCLE_1)
	s_cmp_lt_u32 s2, s12
	s_cbranch_scc0 .LBB106_9
.LBB106_4:                              ; =>This Inner Loop Header: Depth=1
	s_wait_xcnt 0x0
	s_mul_u64 s[10:11], s[6:7], s[2:3]
	s_delay_alu instid0(SALU_CYCLE_1) | instskip(NEXT) | instid1(SALU_CYCLE_1)
	s_lshl_b64 s[10:11], s[10:11], 2
	s_add_nc_u64 s[10:11], s[4:5], s[10:11]
	s_load_b32 s10, s[10:11], 0x0
	s_wait_kmcnt 0x0
	s_cmp_eq_f32 s10, 1.0
	s_cbranch_scc1 .LBB106_3
; %bb.5:                                ;   in Loop: Header=BB106_4 Depth=1
	s_lshl_b64 s[14:15], s[2:3], 3
	s_delay_alu instid0(SALU_CYCLE_1) | instskip(SKIP_4) | instid1(SALU_CYCLE_1)
	s_add_nc_u64 s[14:15], s[8:9], s[14:15]
	s_load_b64 s[14:15], s[14:15], 0x0
	s_wait_kmcnt 0x0
	s_wait_xcnt 0x0
	s_add_nc_u64 s[14:15], s[14:15], s[0:1]
	v_lshl_add_u64 v[2:3], v[0:1], 1, s[14:15]
	s_and_saveexec_b32 s11, vcc_lo
	s_cbranch_execz .LBB106_7
; %bb.6:                                ;   in Loop: Header=BB106_4 Depth=1
	flat_load_b32 v4, v[2:3]
	s_wait_loadcnt_dscnt 0x0
	v_lshrrev_b32_e32 v5, 16, v4
	v_cvt_f32_f16_e32 v4, v4
	s_delay_alu instid0(VALU_DEP_2) | instskip(NEXT) | instid1(VALU_DEP_1)
	v_cvt_f32_f16_e32 v5, v5
	v_pk_mul_f32 v[4:5], s[10:11], v[4:5] op_sel_hi:[0,1]
	s_delay_alu instid0(VALU_DEP_1)
	v_cvt_pk_f16_f32 v4, v4, v5
	flat_store_b32 v[2:3], v4
.LBB106_7:                              ;   in Loop: Header=BB106_4 Depth=1
	s_wait_xcnt 0x0
	s_or_b32 exec_lo, exec_lo, s11
	s_and_saveexec_b32 s11, s13
	s_cbranch_execz .LBB106_2
; %bb.8:                                ;   in Loop: Header=BB106_4 Depth=1
	flat_load_u16 v4, v[2:3]
	s_wait_loadcnt_dscnt 0x0
	v_fma_mixlo_f16 v4, s10, v4, 0 op_sel_hi:[0,1,0]
	flat_store_b16 v[2:3], v4
	s_branch .LBB106_2
.LBB106_9:
	s_endpgm
	.section	.rodata,"a",@progbits
	.p2align	6, 0x0
	.amdhsa_kernel _ZL22rocblas_sscal_2_kernelILi256EDF16_fPKfPKPDF16_EviT2_lT3_lli
		.amdhsa_group_segment_fixed_size 0
		.amdhsa_private_segment_fixed_size 0
		.amdhsa_kernarg_size 52
		.amdhsa_user_sgpr_count 2
		.amdhsa_user_sgpr_dispatch_ptr 0
		.amdhsa_user_sgpr_queue_ptr 0
		.amdhsa_user_sgpr_kernarg_segment_ptr 1
		.amdhsa_user_sgpr_dispatch_id 0
		.amdhsa_user_sgpr_kernarg_preload_length 0
		.amdhsa_user_sgpr_kernarg_preload_offset 0
		.amdhsa_user_sgpr_private_segment_size 0
		.amdhsa_wavefront_size32 1
		.amdhsa_uses_dynamic_stack 0
		.amdhsa_enable_private_segment 0
		.amdhsa_system_sgpr_workgroup_id_x 1
		.amdhsa_system_sgpr_workgroup_id_y 0
		.amdhsa_system_sgpr_workgroup_id_z 1
		.amdhsa_system_sgpr_workgroup_info 0
		.amdhsa_system_vgpr_workitem_id 0
		.amdhsa_next_free_vgpr 6
		.amdhsa_next_free_sgpr 16
		.amdhsa_named_barrier_count 0
		.amdhsa_reserve_vcc 1
		.amdhsa_float_round_mode_32 0
		.amdhsa_float_round_mode_16_64 0
		.amdhsa_float_denorm_mode_32 3
		.amdhsa_float_denorm_mode_16_64 3
		.amdhsa_fp16_overflow 0
		.amdhsa_memory_ordered 1
		.amdhsa_forward_progress 1
		.amdhsa_inst_pref_size 4
		.amdhsa_round_robin_scheduling 0
		.amdhsa_exception_fp_ieee_invalid_op 0
		.amdhsa_exception_fp_denorm_src 0
		.amdhsa_exception_fp_ieee_div_zero 0
		.amdhsa_exception_fp_ieee_overflow 0
		.amdhsa_exception_fp_ieee_underflow 0
		.amdhsa_exception_fp_ieee_inexact 0
		.amdhsa_exception_int_div_zero 0
	.end_amdhsa_kernel
	.section	.text._ZL22rocblas_sscal_2_kernelILi256EDF16_fPKfPKPDF16_EviT2_lT3_lli,"axG",@progbits,_ZL22rocblas_sscal_2_kernelILi256EDF16_fPKfPKPDF16_EviT2_lT3_lli,comdat
.Lfunc_end106:
	.size	_ZL22rocblas_sscal_2_kernelILi256EDF16_fPKfPKPDF16_EviT2_lT3_lli, .Lfunc_end106-_ZL22rocblas_sscal_2_kernelILi256EDF16_fPKfPKPDF16_EviT2_lT3_lli
                                        ; -- End function
	.set _ZL22rocblas_sscal_2_kernelILi256EDF16_fPKfPKPDF16_EviT2_lT3_lli.num_vgpr, 6
	.set _ZL22rocblas_sscal_2_kernelILi256EDF16_fPKfPKPDF16_EviT2_lT3_lli.num_agpr, 0
	.set _ZL22rocblas_sscal_2_kernelILi256EDF16_fPKfPKPDF16_EviT2_lT3_lli.numbered_sgpr, 16
	.set _ZL22rocblas_sscal_2_kernelILi256EDF16_fPKfPKPDF16_EviT2_lT3_lli.num_named_barrier, 0
	.set _ZL22rocblas_sscal_2_kernelILi256EDF16_fPKfPKPDF16_EviT2_lT3_lli.private_seg_size, 0
	.set _ZL22rocblas_sscal_2_kernelILi256EDF16_fPKfPKPDF16_EviT2_lT3_lli.uses_vcc, 1
	.set _ZL22rocblas_sscal_2_kernelILi256EDF16_fPKfPKPDF16_EviT2_lT3_lli.uses_flat_scratch, 0
	.set _ZL22rocblas_sscal_2_kernelILi256EDF16_fPKfPKPDF16_EviT2_lT3_lli.has_dyn_sized_stack, 0
	.set _ZL22rocblas_sscal_2_kernelILi256EDF16_fPKfPKPDF16_EviT2_lT3_lli.has_recursion, 0
	.set _ZL22rocblas_sscal_2_kernelILi256EDF16_fPKfPKPDF16_EviT2_lT3_lli.has_indirect_call, 0
	.section	.AMDGPU.csdata,"",@progbits
; Kernel info:
; codeLenInByte = 428
; TotalNumSgprs: 18
; NumVgprs: 6
; ScratchSize: 0
; MemoryBound: 0
; FloatMode: 240
; IeeeMode: 1
; LDSByteSize: 0 bytes/workgroup (compile time only)
; SGPRBlocks: 0
; VGPRBlocks: 0
; NumSGPRsForWavesPerEU: 18
; NumVGPRsForWavesPerEU: 6
; NamedBarCnt: 0
; Occupancy: 16
; WaveLimiterHint : 1
; COMPUTE_PGM_RSRC2:SCRATCH_EN: 0
; COMPUTE_PGM_RSRC2:USER_SGPR: 2
; COMPUTE_PGM_RSRC2:TRAP_HANDLER: 0
; COMPUTE_PGM_RSRC2:TGID_X_EN: 1
; COMPUTE_PGM_RSRC2:TGID_Y_EN: 0
; COMPUTE_PGM_RSRC2:TGID_Z_EN: 1
; COMPUTE_PGM_RSRC2:TIDIG_COMP_CNT: 0
	.section	.text._ZL22rocblas_sscal_2_kernelILi256EDF16_ffPKPDF16_EviT2_lT3_lli,"axG",@progbits,_ZL22rocblas_sscal_2_kernelILi256EDF16_ffPKPDF16_EviT2_lT3_lli,comdat
	.globl	_ZL22rocblas_sscal_2_kernelILi256EDF16_ffPKPDF16_EviT2_lT3_lli ; -- Begin function _ZL22rocblas_sscal_2_kernelILi256EDF16_ffPKPDF16_EviT2_lT3_lli
	.p2align	8
	.type	_ZL22rocblas_sscal_2_kernelILi256EDF16_ffPKPDF16_EviT2_lT3_lli,@function
_ZL22rocblas_sscal_2_kernelILi256EDF16_ffPKPDF16_EviT2_lT3_lli: ; @_ZL22rocblas_sscal_2_kernelILi256EDF16_ffPKPDF16_EviT2_lT3_lli
; %bb.0:
	s_load_b32 s8, s[0:1], 0x28
	s_bfe_u32 s2, ttmp6, 0x40014
	s_lshr_b32 s3, ttmp7, 16
	s_add_co_i32 s2, s2, 1
	s_bfe_u32 s4, ttmp6, 0x40008
	s_mul_i32 s2, s3, s2
	s_getreg_b32 s10, hwreg(HW_REG_IB_STS2, 6, 4)
	s_add_co_i32 s4, s4, s2
	s_cmp_eq_u32 s10, 0
	s_cselect_b32 s9, s3, s4
	s_wait_kmcnt 0x0
	s_cmp_ge_u32 s9, s8
	s_cbranch_scc1 .LBB107_9
; %bb.1:
	s_clause 0x1
	s_load_b64 s[2:3], s[0:1], 0x0
	s_load_b128 s[4:7], s[0:1], 0x10
	s_bfe_u32 s11, ttmp6, 0x4000c
	s_wait_xcnt 0x0
	s_and_b32 s0, ttmp6, 15
	s_add_co_i32 s11, s11, 1
	v_dual_mov_b32 v1, 0 :: v_dual_lshlrev_b32 v0, 1, v0
	s_mul_i32 s1, ttmp9, s11
	s_delay_alu instid0(SALU_CYCLE_1) | instskip(SKIP_2) | instid1(SALU_CYCLE_1)
	s_add_co_i32 s0, s0, s1
	s_cmp_eq_u32 s10, 0
	s_cselect_b32 s0, ttmp9, s0
	v_lshl_or_b32 v0, s0, 9, v0
	s_delay_alu instid0(VALU_DEP_1)
	v_or_b32_e32 v2, 1, v0
	s_wait_kmcnt 0x0
	s_cmp_neq_f32 s3, 1.0
	s_cselect_b32 s1, -1, 0
	s_bitcmp1_b32 s2, 0
	s_cselect_b32 s10, -1, 0
	s_add_co_i32 s0, s2, -1
	s_lshl_b64 s[6:7], s[6:7], 1
	v_cmp_eq_u32_e32 vcc_lo, s0, v0
	v_cmp_gt_u32_e64 s0, s2, v2
	s_mov_b32 s2, s3
	s_and_b32 s10, s10, vcc_lo
	s_branch .LBB107_4
.LBB107_2:                              ;   in Loop: Header=BB107_4 Depth=1
	s_wait_xcnt 0x0
	s_or_b32 exec_lo, exec_lo, s11
.LBB107_3:                              ;   in Loop: Header=BB107_4 Depth=1
	s_add_co_i32 s9, s9, 0x10000
	s_delay_alu instid0(SALU_CYCLE_1)
	s_cmp_lt_u32 s9, s8
	s_cbranch_scc0 .LBB107_9
.LBB107_4:                              ; =>This Inner Loop Header: Depth=1
	s_and_not1_b32 vcc_lo, exec_lo, s1
	s_cbranch_vccnz .LBB107_3
; %bb.5:                                ;   in Loop: Header=BB107_4 Depth=1
	s_load_b64 s[12:13], s[4:5], s9 offset:0x0 scale_offset
	s_wait_kmcnt 0x0
	s_add_nc_u64 s[12:13], s[12:13], s[6:7]
	s_delay_alu instid0(SALU_CYCLE_1)
	v_lshl_add_u64 v[2:3], v[0:1], 1, s[12:13]
	s_and_saveexec_b32 s11, s0
	s_cbranch_execz .LBB107_7
; %bb.6:                                ;   in Loop: Header=BB107_4 Depth=1
	flat_load_b32 v4, v[2:3]
	v_mov_b64_e32 v[6:7], s[2:3]
	s_wait_loadcnt_dscnt 0x0
	v_lshrrev_b32_e32 v5, 16, v4
	v_cvt_f32_f16_e32 v4, v4
	s_delay_alu instid0(VALU_DEP_2) | instskip(NEXT) | instid1(VALU_DEP_1)
	v_cvt_f32_f16_e32 v5, v5
	v_pk_mul_f32 v[4:5], v[6:7], v[4:5]
	s_delay_alu instid0(VALU_DEP_1)
	v_cvt_pk_f16_f32 v4, v4, v5
	flat_store_b32 v[2:3], v4
.LBB107_7:                              ;   in Loop: Header=BB107_4 Depth=1
	s_wait_xcnt 0x0
	s_or_b32 exec_lo, exec_lo, s11
	s_and_saveexec_b32 s11, s10
	s_cbranch_execz .LBB107_2
; %bb.8:                                ;   in Loop: Header=BB107_4 Depth=1
	flat_load_u16 v4, v[2:3]
	s_wait_loadcnt_dscnt 0x0
	v_fma_mixlo_f16 v4, s3, v4, 0 op_sel_hi:[0,1,0]
	flat_store_b16 v[2:3], v4
	s_branch .LBB107_2
.LBB107_9:
	s_endpgm
	.section	.rodata,"a",@progbits
	.p2align	6, 0x0
	.amdhsa_kernel _ZL22rocblas_sscal_2_kernelILi256EDF16_ffPKPDF16_EviT2_lT3_lli
		.amdhsa_group_segment_fixed_size 0
		.amdhsa_private_segment_fixed_size 0
		.amdhsa_kernarg_size 44
		.amdhsa_user_sgpr_count 2
		.amdhsa_user_sgpr_dispatch_ptr 0
		.amdhsa_user_sgpr_queue_ptr 0
		.amdhsa_user_sgpr_kernarg_segment_ptr 1
		.amdhsa_user_sgpr_dispatch_id 0
		.amdhsa_user_sgpr_kernarg_preload_length 0
		.amdhsa_user_sgpr_kernarg_preload_offset 0
		.amdhsa_user_sgpr_private_segment_size 0
		.amdhsa_wavefront_size32 1
		.amdhsa_uses_dynamic_stack 0
		.amdhsa_enable_private_segment 0
		.amdhsa_system_sgpr_workgroup_id_x 1
		.amdhsa_system_sgpr_workgroup_id_y 0
		.amdhsa_system_sgpr_workgroup_id_z 1
		.amdhsa_system_sgpr_workgroup_info 0
		.amdhsa_system_vgpr_workitem_id 0
		.amdhsa_next_free_vgpr 8
		.amdhsa_next_free_sgpr 14
		.amdhsa_named_barrier_count 0
		.amdhsa_reserve_vcc 1
		.amdhsa_float_round_mode_32 0
		.amdhsa_float_round_mode_16_64 0
		.amdhsa_float_denorm_mode_32 3
		.amdhsa_float_denorm_mode_16_64 3
		.amdhsa_fp16_overflow 0
		.amdhsa_memory_ordered 1
		.amdhsa_forward_progress 1
		.amdhsa_inst_pref_size 4
		.amdhsa_round_robin_scheduling 0
		.amdhsa_exception_fp_ieee_invalid_op 0
		.amdhsa_exception_fp_denorm_src 0
		.amdhsa_exception_fp_ieee_div_zero 0
		.amdhsa_exception_fp_ieee_overflow 0
		.amdhsa_exception_fp_ieee_underflow 0
		.amdhsa_exception_fp_ieee_inexact 0
		.amdhsa_exception_int_div_zero 0
	.end_amdhsa_kernel
	.section	.text._ZL22rocblas_sscal_2_kernelILi256EDF16_ffPKPDF16_EviT2_lT3_lli,"axG",@progbits,_ZL22rocblas_sscal_2_kernelILi256EDF16_ffPKPDF16_EviT2_lT3_lli,comdat
.Lfunc_end107:
	.size	_ZL22rocblas_sscal_2_kernelILi256EDF16_ffPKPDF16_EviT2_lT3_lli, .Lfunc_end107-_ZL22rocblas_sscal_2_kernelILi256EDF16_ffPKPDF16_EviT2_lT3_lli
                                        ; -- End function
	.set _ZL22rocblas_sscal_2_kernelILi256EDF16_ffPKPDF16_EviT2_lT3_lli.num_vgpr, 8
	.set _ZL22rocblas_sscal_2_kernelILi256EDF16_ffPKPDF16_EviT2_lT3_lli.num_agpr, 0
	.set _ZL22rocblas_sscal_2_kernelILi256EDF16_ffPKPDF16_EviT2_lT3_lli.numbered_sgpr, 14
	.set _ZL22rocblas_sscal_2_kernelILi256EDF16_ffPKPDF16_EviT2_lT3_lli.num_named_barrier, 0
	.set _ZL22rocblas_sscal_2_kernelILi256EDF16_ffPKPDF16_EviT2_lT3_lli.private_seg_size, 0
	.set _ZL22rocblas_sscal_2_kernelILi256EDF16_ffPKPDF16_EviT2_lT3_lli.uses_vcc, 1
	.set _ZL22rocblas_sscal_2_kernelILi256EDF16_ffPKPDF16_EviT2_lT3_lli.uses_flat_scratch, 0
	.set _ZL22rocblas_sscal_2_kernelILi256EDF16_ffPKPDF16_EviT2_lT3_lli.has_dyn_sized_stack, 0
	.set _ZL22rocblas_sscal_2_kernelILi256EDF16_ffPKPDF16_EviT2_lT3_lli.has_recursion, 0
	.set _ZL22rocblas_sscal_2_kernelILi256EDF16_ffPKPDF16_EviT2_lT3_lli.has_indirect_call, 0
	.section	.AMDGPU.csdata,"",@progbits
; Kernel info:
; codeLenInByte = 400
; TotalNumSgprs: 16
; NumVgprs: 8
; ScratchSize: 0
; MemoryBound: 0
; FloatMode: 240
; IeeeMode: 1
; LDSByteSize: 0 bytes/workgroup (compile time only)
; SGPRBlocks: 0
; VGPRBlocks: 0
; NumSGPRsForWavesPerEU: 16
; NumVGPRsForWavesPerEU: 8
; NamedBarCnt: 0
; Occupancy: 16
; WaveLimiterHint : 1
; COMPUTE_PGM_RSRC2:SCRATCH_EN: 0
; COMPUTE_PGM_RSRC2:USER_SGPR: 2
; COMPUTE_PGM_RSRC2:TRAP_HANDLER: 0
; COMPUTE_PGM_RSRC2:TGID_X_EN: 1
; COMPUTE_PGM_RSRC2:TGID_Y_EN: 0
; COMPUTE_PGM_RSRC2:TGID_Z_EN: 1
; COMPUTE_PGM_RSRC2:TIDIG_COMP_CNT: 0
	.section	.text._ZL19rocblas_scal_kernelIiLi256EDF16_fPKfPKPDF16_EviT3_lT4_lT_li,"axG",@progbits,_ZL19rocblas_scal_kernelIiLi256EDF16_fPKfPKPDF16_EviT3_lT4_lT_li,comdat
	.globl	_ZL19rocblas_scal_kernelIiLi256EDF16_fPKfPKPDF16_EviT3_lT4_lT_li ; -- Begin function _ZL19rocblas_scal_kernelIiLi256EDF16_fPKfPKPDF16_EviT3_lT4_lT_li
	.p2align	8
	.type	_ZL19rocblas_scal_kernelIiLi256EDF16_fPKfPKPDF16_EviT3_lT4_lT_li,@function
_ZL19rocblas_scal_kernelIiLi256EDF16_fPKfPKPDF16_EviT3_lT4_lT_li: ; @_ZL19rocblas_scal_kernelIiLi256EDF16_fPKfPKPDF16_EviT3_lT4_lT_li
; %bb.0:
	s_load_b32 s12, s[0:1], 0x38
	s_bfe_u32 s2, ttmp6, 0x40014
	s_lshr_b32 s3, ttmp7, 16
	s_add_co_i32 s2, s2, 1
	s_bfe_u32 s5, ttmp6, 0x40008
	s_mul_i32 s2, s3, s2
	s_getreg_b32 s4, hwreg(HW_REG_IB_STS2, 6, 4)
	s_add_co_i32 s5, s5, s2
	s_cmp_eq_u32 s4, 0
	s_cselect_b32 s2, s3, s5
	s_mov_b32 s3, 0
	s_wait_kmcnt 0x0
	s_cmp_ge_u32 s2, s12
	s_cbranch_scc1 .LBB108_5
; %bb.1:
	s_load_b32 s6, s[0:1], 0x28
	s_bfe_u32 s5, ttmp6, 0x4000c
	s_and_b32 s7, ttmp6, 15
	s_add_co_i32 s5, s5, 1
	v_mov_b32_e32 v3, 0
	s_mul_i32 s5, ttmp9, s5
	s_delay_alu instid0(SALU_CYCLE_1) | instskip(SKIP_4) | instid1(SALU_CYCLE_1)
	s_add_co_i32 s5, s7, s5
	s_wait_kmcnt 0x0
	s_ashr_i32 s7, s6, 31
	s_cmp_eq_u32 s4, 0
	s_cselect_b32 s4, ttmp9, s5
	v_lshl_or_b32 v2, s4, 8, v0
	s_delay_alu instid0(VALU_DEP_1)
	v_mul_u64_e32 v[0:1], s[6:7], v[2:3]
	s_clause 0x1
	s_load_b32 s13, s[0:1], 0x0
	s_load_b256 s[4:11], s[0:1], 0x8
	s_wait_kmcnt 0x0
	v_cmp_gt_u32_e32 vcc_lo, s13, v2
	s_lshl_b64 s[0:1], s[10:11], 1
	s_branch .LBB108_3
.LBB108_2:                              ;   in Loop: Header=BB108_3 Depth=1
	s_wait_xcnt 0x0
	s_or_b32 exec_lo, exec_lo, s11
	s_add_co_i32 s2, s2, 0x10000
	s_delay_alu instid0(SALU_CYCLE_1)
	s_cmp_lt_u32 s2, s12
	s_cbranch_scc0 .LBB108_5
.LBB108_3:                              ; =>This Inner Loop Header: Depth=1
	s_mul_u64 s[10:11], s[6:7], s[2:3]
	s_delay_alu instid0(SALU_CYCLE_1) | instskip(NEXT) | instid1(SALU_CYCLE_1)
	s_lshl_b64 s[10:11], s[10:11], 2
	s_add_nc_u64 s[10:11], s[4:5], s[10:11]
	s_load_b32 s10, s[10:11], 0x0
	s_wait_kmcnt 0x0
	s_cmp_neq_f32 s10, 1.0
	s_wait_xcnt 0x0
	s_cselect_b32 s11, -1, 0
	s_delay_alu instid0(SALU_CYCLE_1) | instskip(NEXT) | instid1(SALU_CYCLE_1)
	s_and_b32 s13, vcc_lo, s11
	s_and_saveexec_b32 s11, s13
	s_cbranch_execz .LBB108_2
; %bb.4:                                ;   in Loop: Header=BB108_3 Depth=1
	s_lshl_b64 s[14:15], s[2:3], 3
	s_delay_alu instid0(SALU_CYCLE_1)
	s_add_nc_u64 s[14:15], s[8:9], s[14:15]
	s_load_b64 s[14:15], s[14:15], 0x0
	s_wait_kmcnt 0x0
	s_wait_xcnt 0x0
	s_add_nc_u64 s[14:15], s[14:15], s[0:1]
	s_delay_alu instid0(VALU_DEP_2) | instid1(SALU_CYCLE_1)
	v_lshl_add_u64 v[2:3], v[0:1], 1, s[14:15]
	flat_load_u16 v4, v[2:3]
	s_wait_loadcnt_dscnt 0x0
	v_fma_mixlo_f16 v4, s10, v4, 0 op_sel_hi:[0,1,0]
	flat_store_b16 v[2:3], v4
	s_branch .LBB108_2
.LBB108_5:
	s_endpgm
	.section	.rodata,"a",@progbits
	.p2align	6, 0x0
	.amdhsa_kernel _ZL19rocblas_scal_kernelIiLi256EDF16_fPKfPKPDF16_EviT3_lT4_lT_li
		.amdhsa_group_segment_fixed_size 0
		.amdhsa_private_segment_fixed_size 0
		.amdhsa_kernarg_size 60
		.amdhsa_user_sgpr_count 2
		.amdhsa_user_sgpr_dispatch_ptr 0
		.amdhsa_user_sgpr_queue_ptr 0
		.amdhsa_user_sgpr_kernarg_segment_ptr 1
		.amdhsa_user_sgpr_dispatch_id 0
		.amdhsa_user_sgpr_kernarg_preload_length 0
		.amdhsa_user_sgpr_kernarg_preload_offset 0
		.amdhsa_user_sgpr_private_segment_size 0
		.amdhsa_wavefront_size32 1
		.amdhsa_uses_dynamic_stack 0
		.amdhsa_enable_private_segment 0
		.amdhsa_system_sgpr_workgroup_id_x 1
		.amdhsa_system_sgpr_workgroup_id_y 0
		.amdhsa_system_sgpr_workgroup_id_z 1
		.amdhsa_system_sgpr_workgroup_info 0
		.amdhsa_system_vgpr_workitem_id 0
		.amdhsa_next_free_vgpr 5
		.amdhsa_next_free_sgpr 16
		.amdhsa_named_barrier_count 0
		.amdhsa_reserve_vcc 1
		.amdhsa_float_round_mode_32 0
		.amdhsa_float_round_mode_16_64 0
		.amdhsa_float_denorm_mode_32 3
		.amdhsa_float_denorm_mode_16_64 3
		.amdhsa_fp16_overflow 0
		.amdhsa_memory_ordered 1
		.amdhsa_forward_progress 1
		.amdhsa_inst_pref_size 3
		.amdhsa_round_robin_scheduling 0
		.amdhsa_exception_fp_ieee_invalid_op 0
		.amdhsa_exception_fp_denorm_src 0
		.amdhsa_exception_fp_ieee_div_zero 0
		.amdhsa_exception_fp_ieee_overflow 0
		.amdhsa_exception_fp_ieee_underflow 0
		.amdhsa_exception_fp_ieee_inexact 0
		.amdhsa_exception_int_div_zero 0
	.end_amdhsa_kernel
	.section	.text._ZL19rocblas_scal_kernelIiLi256EDF16_fPKfPKPDF16_EviT3_lT4_lT_li,"axG",@progbits,_ZL19rocblas_scal_kernelIiLi256EDF16_fPKfPKPDF16_EviT3_lT4_lT_li,comdat
.Lfunc_end108:
	.size	_ZL19rocblas_scal_kernelIiLi256EDF16_fPKfPKPDF16_EviT3_lT4_lT_li, .Lfunc_end108-_ZL19rocblas_scal_kernelIiLi256EDF16_fPKfPKPDF16_EviT3_lT4_lT_li
                                        ; -- End function
	.set _ZL19rocblas_scal_kernelIiLi256EDF16_fPKfPKPDF16_EviT3_lT4_lT_li.num_vgpr, 5
	.set _ZL19rocblas_scal_kernelIiLi256EDF16_fPKfPKPDF16_EviT3_lT4_lT_li.num_agpr, 0
	.set _ZL19rocblas_scal_kernelIiLi256EDF16_fPKfPKPDF16_EviT3_lT4_lT_li.numbered_sgpr, 16
	.set _ZL19rocblas_scal_kernelIiLi256EDF16_fPKfPKPDF16_EviT3_lT4_lT_li.num_named_barrier, 0
	.set _ZL19rocblas_scal_kernelIiLi256EDF16_fPKfPKPDF16_EviT3_lT4_lT_li.private_seg_size, 0
	.set _ZL19rocblas_scal_kernelIiLi256EDF16_fPKfPKPDF16_EviT3_lT4_lT_li.uses_vcc, 1
	.set _ZL19rocblas_scal_kernelIiLi256EDF16_fPKfPKPDF16_EviT3_lT4_lT_li.uses_flat_scratch, 0
	.set _ZL19rocblas_scal_kernelIiLi256EDF16_fPKfPKPDF16_EviT3_lT4_lT_li.has_dyn_sized_stack, 0
	.set _ZL19rocblas_scal_kernelIiLi256EDF16_fPKfPKPDF16_EviT3_lT4_lT_li.has_recursion, 0
	.set _ZL19rocblas_scal_kernelIiLi256EDF16_fPKfPKPDF16_EviT3_lT4_lT_li.has_indirect_call, 0
	.section	.AMDGPU.csdata,"",@progbits
; Kernel info:
; codeLenInByte = 348
; TotalNumSgprs: 18
; NumVgprs: 5
; ScratchSize: 0
; MemoryBound: 0
; FloatMode: 240
; IeeeMode: 1
; LDSByteSize: 0 bytes/workgroup (compile time only)
; SGPRBlocks: 0
; VGPRBlocks: 0
; NumSGPRsForWavesPerEU: 18
; NumVGPRsForWavesPerEU: 5
; NamedBarCnt: 0
; Occupancy: 16
; WaveLimiterHint : 1
; COMPUTE_PGM_RSRC2:SCRATCH_EN: 0
; COMPUTE_PGM_RSRC2:USER_SGPR: 2
; COMPUTE_PGM_RSRC2:TRAP_HANDLER: 0
; COMPUTE_PGM_RSRC2:TGID_X_EN: 1
; COMPUTE_PGM_RSRC2:TGID_Y_EN: 0
; COMPUTE_PGM_RSRC2:TGID_Z_EN: 1
; COMPUTE_PGM_RSRC2:TIDIG_COMP_CNT: 0
	.section	.text._ZL19rocblas_scal_kernelIiLi256EDF16_ffPKPDF16_EviT3_lT4_lT_li,"axG",@progbits,_ZL19rocblas_scal_kernelIiLi256EDF16_ffPKPDF16_EviT3_lT4_lT_li,comdat
	.globl	_ZL19rocblas_scal_kernelIiLi256EDF16_ffPKPDF16_EviT3_lT4_lT_li ; -- Begin function _ZL19rocblas_scal_kernelIiLi256EDF16_ffPKPDF16_EviT3_lT4_lT_li
	.p2align	8
	.type	_ZL19rocblas_scal_kernelIiLi256EDF16_ffPKPDF16_EviT3_lT4_lT_li,@function
_ZL19rocblas_scal_kernelIiLi256EDF16_ffPKPDF16_EviT3_lT4_lT_li: ; @_ZL19rocblas_scal_kernelIiLi256EDF16_ffPKPDF16_EviT3_lT4_lT_li
; %bb.0:
	s_load_b32 s8, s[0:1], 0x30
	s_bfe_u32 s2, ttmp6, 0x40014
	s_lshr_b32 s3, ttmp7, 16
	s_add_co_i32 s2, s2, 1
	s_bfe_u32 s5, ttmp6, 0x40008
	s_mul_i32 s4, s3, s2
	s_getreg_b32 s2, hwreg(HW_REG_IB_STS2, 6, 4)
	s_add_co_i32 s5, s5, s4
	s_cmp_eq_u32 s2, 0
	s_cselect_b32 s9, s3, s5
	s_wait_kmcnt 0x0
	s_cmp_ge_u32 s9, s8
	s_cbranch_scc1 .LBB109_5
; %bb.1:
	s_load_b32 s4, s[0:1], 0x20
	s_bfe_u32 s3, ttmp6, 0x4000c
	s_and_b32 s5, ttmp6, 15
	s_add_co_i32 s3, s3, 1
	v_mov_b32_e32 v3, 0
	s_mul_i32 s3, ttmp9, s3
	s_delay_alu instid0(SALU_CYCLE_1) | instskip(SKIP_4) | instid1(SALU_CYCLE_1)
	s_add_co_i32 s3, s5, s3
	s_wait_kmcnt 0x0
	s_ashr_i32 s5, s4, 31
	s_cmp_eq_u32 s2, 0
	s_cselect_b32 s2, ttmp9, s3
	v_lshl_or_b32 v2, s2, 8, v0
	s_delay_alu instid0(VALU_DEP_1)
	v_mul_u64_e32 v[0:1], s[4:5], v[2:3]
	s_clause 0x1
	s_load_b64 s[2:3], s[0:1], 0x0
	s_load_b128 s[4:7], s[0:1], 0x10
	s_wait_kmcnt 0x0
	s_cmp_neq_f32 s3, 1.0
	v_cmp_gt_u32_e32 vcc_lo, s2, v2
	s_cselect_b32 s0, -1, 0
	s_delay_alu instid0(SALU_CYCLE_1)
	s_and_b32 s2, vcc_lo, s0
	s_lshl_b64 s[0:1], s[6:7], 1
	s_branch .LBB109_3
.LBB109_2:                              ;   in Loop: Header=BB109_3 Depth=1
	s_wait_xcnt 0x0
	s_or_b32 exec_lo, exec_lo, s6
	s_add_co_i32 s9, s9, 0x10000
	s_delay_alu instid0(SALU_CYCLE_1)
	s_cmp_lt_u32 s9, s8
	s_cbranch_scc0 .LBB109_5
.LBB109_3:                              ; =>This Inner Loop Header: Depth=1
	s_and_saveexec_b32 s6, s2
	s_cbranch_execz .LBB109_2
; %bb.4:                                ;   in Loop: Header=BB109_3 Depth=1
	s_load_b64 s[10:11], s[4:5], s9 offset:0x0 scale_offset
	s_wait_kmcnt 0x0
	s_add_nc_u64 s[10:11], s[10:11], s[0:1]
	s_delay_alu instid0(VALU_DEP_2) | instid1(SALU_CYCLE_1)
	v_lshl_add_u64 v[2:3], v[0:1], 1, s[10:11]
	flat_load_u16 v4, v[2:3]
	s_wait_loadcnt_dscnt 0x0
	v_fma_mixlo_f16 v4, s3, v4, 0 op_sel_hi:[0,1,0]
	flat_store_b16 v[2:3], v4
	s_branch .LBB109_2
.LBB109_5:
	s_endpgm
	.section	.rodata,"a",@progbits
	.p2align	6, 0x0
	.amdhsa_kernel _ZL19rocblas_scal_kernelIiLi256EDF16_ffPKPDF16_EviT3_lT4_lT_li
		.amdhsa_group_segment_fixed_size 0
		.amdhsa_private_segment_fixed_size 0
		.amdhsa_kernarg_size 52
		.amdhsa_user_sgpr_count 2
		.amdhsa_user_sgpr_dispatch_ptr 0
		.amdhsa_user_sgpr_queue_ptr 0
		.amdhsa_user_sgpr_kernarg_segment_ptr 1
		.amdhsa_user_sgpr_dispatch_id 0
		.amdhsa_user_sgpr_kernarg_preload_length 0
		.amdhsa_user_sgpr_kernarg_preload_offset 0
		.amdhsa_user_sgpr_private_segment_size 0
		.amdhsa_wavefront_size32 1
		.amdhsa_uses_dynamic_stack 0
		.amdhsa_enable_private_segment 0
		.amdhsa_system_sgpr_workgroup_id_x 1
		.amdhsa_system_sgpr_workgroup_id_y 0
		.amdhsa_system_sgpr_workgroup_id_z 1
		.amdhsa_system_sgpr_workgroup_info 0
		.amdhsa_system_vgpr_workitem_id 0
		.amdhsa_next_free_vgpr 5
		.amdhsa_next_free_sgpr 12
		.amdhsa_named_barrier_count 0
		.amdhsa_reserve_vcc 1
		.amdhsa_float_round_mode_32 0
		.amdhsa_float_round_mode_16_64 0
		.amdhsa_float_denorm_mode_32 3
		.amdhsa_float_denorm_mode_16_64 3
		.amdhsa_fp16_overflow 0
		.amdhsa_memory_ordered 1
		.amdhsa_forward_progress 1
		.amdhsa_inst_pref_size 3
		.amdhsa_round_robin_scheduling 0
		.amdhsa_exception_fp_ieee_invalid_op 0
		.amdhsa_exception_fp_denorm_src 0
		.amdhsa_exception_fp_ieee_div_zero 0
		.amdhsa_exception_fp_ieee_overflow 0
		.amdhsa_exception_fp_ieee_underflow 0
		.amdhsa_exception_fp_ieee_inexact 0
		.amdhsa_exception_int_div_zero 0
	.end_amdhsa_kernel
	.section	.text._ZL19rocblas_scal_kernelIiLi256EDF16_ffPKPDF16_EviT3_lT4_lT_li,"axG",@progbits,_ZL19rocblas_scal_kernelIiLi256EDF16_ffPKPDF16_EviT3_lT4_lT_li,comdat
.Lfunc_end109:
	.size	_ZL19rocblas_scal_kernelIiLi256EDF16_ffPKPDF16_EviT3_lT4_lT_li, .Lfunc_end109-_ZL19rocblas_scal_kernelIiLi256EDF16_ffPKPDF16_EviT3_lT4_lT_li
                                        ; -- End function
	.set _ZL19rocblas_scal_kernelIiLi256EDF16_ffPKPDF16_EviT3_lT4_lT_li.num_vgpr, 5
	.set _ZL19rocblas_scal_kernelIiLi256EDF16_ffPKPDF16_EviT3_lT4_lT_li.num_agpr, 0
	.set _ZL19rocblas_scal_kernelIiLi256EDF16_ffPKPDF16_EviT3_lT4_lT_li.numbered_sgpr, 12
	.set _ZL19rocblas_scal_kernelIiLi256EDF16_ffPKPDF16_EviT3_lT4_lT_li.num_named_barrier, 0
	.set _ZL19rocblas_scal_kernelIiLi256EDF16_ffPKPDF16_EviT3_lT4_lT_li.private_seg_size, 0
	.set _ZL19rocblas_scal_kernelIiLi256EDF16_ffPKPDF16_EviT3_lT4_lT_li.uses_vcc, 1
	.set _ZL19rocblas_scal_kernelIiLi256EDF16_ffPKPDF16_EviT3_lT4_lT_li.uses_flat_scratch, 0
	.set _ZL19rocblas_scal_kernelIiLi256EDF16_ffPKPDF16_EviT3_lT4_lT_li.has_dyn_sized_stack, 0
	.set _ZL19rocblas_scal_kernelIiLi256EDF16_ffPKPDF16_EviT3_lT4_lT_li.has_recursion, 0
	.set _ZL19rocblas_scal_kernelIiLi256EDF16_ffPKPDF16_EviT3_lT4_lT_li.has_indirect_call, 0
	.section	.AMDGPU.csdata,"",@progbits
; Kernel info:
; codeLenInByte = 296
; TotalNumSgprs: 14
; NumVgprs: 5
; ScratchSize: 0
; MemoryBound: 0
; FloatMode: 240
; IeeeMode: 1
; LDSByteSize: 0 bytes/workgroup (compile time only)
; SGPRBlocks: 0
; VGPRBlocks: 0
; NumSGPRsForWavesPerEU: 14
; NumVGPRsForWavesPerEU: 5
; NamedBarCnt: 0
; Occupancy: 16
; WaveLimiterHint : 1
; COMPUTE_PGM_RSRC2:SCRATCH_EN: 0
; COMPUTE_PGM_RSRC2:USER_SGPR: 2
; COMPUTE_PGM_RSRC2:TRAP_HANDLER: 0
; COMPUTE_PGM_RSRC2:TGID_X_EN: 1
; COMPUTE_PGM_RSRC2:TGID_Y_EN: 0
; COMPUTE_PGM_RSRC2:TGID_Z_EN: 1
; COMPUTE_PGM_RSRC2:TIDIG_COMP_CNT: 0
	.section	.text._ZL19rocblas_scal_kernelIlLi256EDF16_fPKfPKPDF16_EviT3_lT4_lT_li,"axG",@progbits,_ZL19rocblas_scal_kernelIlLi256EDF16_fPKfPKPDF16_EviT3_lT4_lT_li,comdat
	.globl	_ZL19rocblas_scal_kernelIlLi256EDF16_fPKfPKPDF16_EviT3_lT4_lT_li ; -- Begin function _ZL19rocblas_scal_kernelIlLi256EDF16_fPKfPKPDF16_EviT3_lT4_lT_li
	.p2align	8
	.type	_ZL19rocblas_scal_kernelIlLi256EDF16_fPKfPKPDF16_EviT3_lT4_lT_li,@function
_ZL19rocblas_scal_kernelIlLi256EDF16_fPKfPKPDF16_EviT3_lT4_lT_li: ; @_ZL19rocblas_scal_kernelIlLi256EDF16_fPKfPKPDF16_EviT3_lT4_lT_li
; %bb.0:
	s_load_b32 s12, s[0:1], 0x38
	s_bfe_u32 s2, ttmp6, 0x40014
	s_lshr_b32 s3, ttmp7, 16
	s_add_co_i32 s2, s2, 1
	s_bfe_u32 s5, ttmp6, 0x40008
	s_mul_i32 s2, s3, s2
	s_getreg_b32 s4, hwreg(HW_REG_IB_STS2, 6, 4)
	s_add_co_i32 s5, s5, s2
	s_cmp_eq_u32 s4, 0
	s_cselect_b32 s2, s3, s5
	s_mov_b32 s3, 0
	s_wait_kmcnt 0x0
	s_cmp_ge_u32 s2, s12
	s_cbranch_scc1 .LBB110_5
; %bb.1:
	s_load_b64 s[6:7], s[0:1], 0x28
	s_bfe_u32 s5, ttmp6, 0x4000c
	s_and_b32 s8, ttmp6, 15
	s_add_co_i32 s5, s5, 1
	v_mov_b32_e32 v3, 0
	s_mul_i32 s5, ttmp9, s5
	s_delay_alu instid0(SALU_CYCLE_1) | instskip(SKIP_2) | instid1(SALU_CYCLE_1)
	s_add_co_i32 s8, s8, s5
	s_cmp_eq_u32 s4, 0
	s_cselect_b32 s4, ttmp9, s8
	v_lshl_or_b32 v2, s4, 8, v0
	s_wait_kmcnt 0x0
	s_delay_alu instid0(VALU_DEP_1)
	v_mul_u64_e32 v[0:1], s[6:7], v[2:3]
	s_clause 0x1
	s_load_b32 s13, s[0:1], 0x0
	s_load_b256 s[4:11], s[0:1], 0x8
	s_wait_kmcnt 0x0
	v_cmp_gt_u32_e32 vcc_lo, s13, v2
	s_lshl_b64 s[0:1], s[10:11], 1
	s_branch .LBB110_3
.LBB110_2:                              ;   in Loop: Header=BB110_3 Depth=1
	s_wait_xcnt 0x0
	s_or_b32 exec_lo, exec_lo, s11
	s_add_co_i32 s2, s2, 0x10000
	s_delay_alu instid0(SALU_CYCLE_1)
	s_cmp_lt_u32 s2, s12
	s_cbranch_scc0 .LBB110_5
.LBB110_3:                              ; =>This Inner Loop Header: Depth=1
	s_mul_u64 s[10:11], s[6:7], s[2:3]
	s_delay_alu instid0(SALU_CYCLE_1) | instskip(NEXT) | instid1(SALU_CYCLE_1)
	s_lshl_b64 s[10:11], s[10:11], 2
	s_add_nc_u64 s[10:11], s[4:5], s[10:11]
	s_load_b32 s10, s[10:11], 0x0
	s_wait_kmcnt 0x0
	s_cmp_neq_f32 s10, 1.0
	s_wait_xcnt 0x0
	s_cselect_b32 s11, -1, 0
	s_delay_alu instid0(SALU_CYCLE_1) | instskip(NEXT) | instid1(SALU_CYCLE_1)
	s_and_b32 s13, vcc_lo, s11
	s_and_saveexec_b32 s11, s13
	s_cbranch_execz .LBB110_2
; %bb.4:                                ;   in Loop: Header=BB110_3 Depth=1
	s_lshl_b64 s[14:15], s[2:3], 3
	s_delay_alu instid0(SALU_CYCLE_1)
	s_add_nc_u64 s[14:15], s[8:9], s[14:15]
	s_load_b64 s[14:15], s[14:15], 0x0
	s_wait_kmcnt 0x0
	s_wait_xcnt 0x0
	s_add_nc_u64 s[14:15], s[14:15], s[0:1]
	s_delay_alu instid0(VALU_DEP_2) | instid1(SALU_CYCLE_1)
	v_lshl_add_u64 v[2:3], v[0:1], 1, s[14:15]
	flat_load_u16 v4, v[2:3]
	s_wait_loadcnt_dscnt 0x0
	v_fma_mixlo_f16 v4, s10, v4, 0 op_sel_hi:[0,1,0]
	flat_store_b16 v[2:3], v4
	s_branch .LBB110_2
.LBB110_5:
	s_endpgm
	.section	.rodata,"a",@progbits
	.p2align	6, 0x0
	.amdhsa_kernel _ZL19rocblas_scal_kernelIlLi256EDF16_fPKfPKPDF16_EviT3_lT4_lT_li
		.amdhsa_group_segment_fixed_size 0
		.amdhsa_private_segment_fixed_size 0
		.amdhsa_kernarg_size 60
		.amdhsa_user_sgpr_count 2
		.amdhsa_user_sgpr_dispatch_ptr 0
		.amdhsa_user_sgpr_queue_ptr 0
		.amdhsa_user_sgpr_kernarg_segment_ptr 1
		.amdhsa_user_sgpr_dispatch_id 0
		.amdhsa_user_sgpr_kernarg_preload_length 0
		.amdhsa_user_sgpr_kernarg_preload_offset 0
		.amdhsa_user_sgpr_private_segment_size 0
		.amdhsa_wavefront_size32 1
		.amdhsa_uses_dynamic_stack 0
		.amdhsa_enable_private_segment 0
		.amdhsa_system_sgpr_workgroup_id_x 1
		.amdhsa_system_sgpr_workgroup_id_y 0
		.amdhsa_system_sgpr_workgroup_id_z 1
		.amdhsa_system_sgpr_workgroup_info 0
		.amdhsa_system_vgpr_workitem_id 0
		.amdhsa_next_free_vgpr 5
		.amdhsa_next_free_sgpr 16
		.amdhsa_named_barrier_count 0
		.amdhsa_reserve_vcc 1
		.amdhsa_float_round_mode_32 0
		.amdhsa_float_round_mode_16_64 0
		.amdhsa_float_denorm_mode_32 3
		.amdhsa_float_denorm_mode_16_64 3
		.amdhsa_fp16_overflow 0
		.amdhsa_memory_ordered 1
		.amdhsa_forward_progress 1
		.amdhsa_inst_pref_size 3
		.amdhsa_round_robin_scheduling 0
		.amdhsa_exception_fp_ieee_invalid_op 0
		.amdhsa_exception_fp_denorm_src 0
		.amdhsa_exception_fp_ieee_div_zero 0
		.amdhsa_exception_fp_ieee_overflow 0
		.amdhsa_exception_fp_ieee_underflow 0
		.amdhsa_exception_fp_ieee_inexact 0
		.amdhsa_exception_int_div_zero 0
	.end_amdhsa_kernel
	.section	.text._ZL19rocblas_scal_kernelIlLi256EDF16_fPKfPKPDF16_EviT3_lT4_lT_li,"axG",@progbits,_ZL19rocblas_scal_kernelIlLi256EDF16_fPKfPKPDF16_EviT3_lT4_lT_li,comdat
.Lfunc_end110:
	.size	_ZL19rocblas_scal_kernelIlLi256EDF16_fPKfPKPDF16_EviT3_lT4_lT_li, .Lfunc_end110-_ZL19rocblas_scal_kernelIlLi256EDF16_fPKfPKPDF16_EviT3_lT4_lT_li
                                        ; -- End function
	.set _ZL19rocblas_scal_kernelIlLi256EDF16_fPKfPKPDF16_EviT3_lT4_lT_li.num_vgpr, 5
	.set _ZL19rocblas_scal_kernelIlLi256EDF16_fPKfPKPDF16_EviT3_lT4_lT_li.num_agpr, 0
	.set _ZL19rocblas_scal_kernelIlLi256EDF16_fPKfPKPDF16_EviT3_lT4_lT_li.numbered_sgpr, 16
	.set _ZL19rocblas_scal_kernelIlLi256EDF16_fPKfPKPDF16_EviT3_lT4_lT_li.num_named_barrier, 0
	.set _ZL19rocblas_scal_kernelIlLi256EDF16_fPKfPKPDF16_EviT3_lT4_lT_li.private_seg_size, 0
	.set _ZL19rocblas_scal_kernelIlLi256EDF16_fPKfPKPDF16_EviT3_lT4_lT_li.uses_vcc, 1
	.set _ZL19rocblas_scal_kernelIlLi256EDF16_fPKfPKPDF16_EviT3_lT4_lT_li.uses_flat_scratch, 0
	.set _ZL19rocblas_scal_kernelIlLi256EDF16_fPKfPKPDF16_EviT3_lT4_lT_li.has_dyn_sized_stack, 0
	.set _ZL19rocblas_scal_kernelIlLi256EDF16_fPKfPKPDF16_EviT3_lT4_lT_li.has_recursion, 0
	.set _ZL19rocblas_scal_kernelIlLi256EDF16_fPKfPKPDF16_EviT3_lT4_lT_li.has_indirect_call, 0
	.section	.AMDGPU.csdata,"",@progbits
; Kernel info:
; codeLenInByte = 344
; TotalNumSgprs: 18
; NumVgprs: 5
; ScratchSize: 0
; MemoryBound: 0
; FloatMode: 240
; IeeeMode: 1
; LDSByteSize: 0 bytes/workgroup (compile time only)
; SGPRBlocks: 0
; VGPRBlocks: 0
; NumSGPRsForWavesPerEU: 18
; NumVGPRsForWavesPerEU: 5
; NamedBarCnt: 0
; Occupancy: 16
; WaveLimiterHint : 1
; COMPUTE_PGM_RSRC2:SCRATCH_EN: 0
; COMPUTE_PGM_RSRC2:USER_SGPR: 2
; COMPUTE_PGM_RSRC2:TRAP_HANDLER: 0
; COMPUTE_PGM_RSRC2:TGID_X_EN: 1
; COMPUTE_PGM_RSRC2:TGID_Y_EN: 0
; COMPUTE_PGM_RSRC2:TGID_Z_EN: 1
; COMPUTE_PGM_RSRC2:TIDIG_COMP_CNT: 0
	.section	.text._ZL19rocblas_scal_kernelIlLi256EDF16_ffPKPDF16_EviT3_lT4_lT_li,"axG",@progbits,_ZL19rocblas_scal_kernelIlLi256EDF16_ffPKPDF16_EviT3_lT4_lT_li,comdat
	.globl	_ZL19rocblas_scal_kernelIlLi256EDF16_ffPKPDF16_EviT3_lT4_lT_li ; -- Begin function _ZL19rocblas_scal_kernelIlLi256EDF16_ffPKPDF16_EviT3_lT4_lT_li
	.p2align	8
	.type	_ZL19rocblas_scal_kernelIlLi256EDF16_ffPKPDF16_EviT3_lT4_lT_li,@function
_ZL19rocblas_scal_kernelIlLi256EDF16_ffPKPDF16_EviT3_lT4_lT_li: ; @_ZL19rocblas_scal_kernelIlLi256EDF16_ffPKPDF16_EviT3_lT4_lT_li
; %bb.0:
	s_load_b32 s8, s[0:1], 0x30
	s_bfe_u32 s2, ttmp6, 0x40014
	s_lshr_b32 s3, ttmp7, 16
	s_add_co_i32 s2, s2, 1
	s_bfe_u32 s5, ttmp6, 0x40008
	s_mul_i32 s4, s3, s2
	s_getreg_b32 s2, hwreg(HW_REG_IB_STS2, 6, 4)
	s_add_co_i32 s5, s5, s4
	s_cmp_eq_u32 s2, 0
	s_cselect_b32 s9, s3, s5
	s_wait_kmcnt 0x0
	s_cmp_ge_u32 s9, s8
	s_cbranch_scc1 .LBB111_5
; %bb.1:
	s_load_b64 s[4:5], s[0:1], 0x20
	s_bfe_u32 s3, ttmp6, 0x4000c
	s_and_b32 s6, ttmp6, 15
	s_add_co_i32 s3, s3, 1
	v_mov_b32_e32 v3, 0
	s_mul_i32 s3, ttmp9, s3
	s_delay_alu instid0(SALU_CYCLE_1) | instskip(SKIP_2) | instid1(SALU_CYCLE_1)
	s_add_co_i32 s6, s6, s3
	s_cmp_eq_u32 s2, 0
	s_cselect_b32 s2, ttmp9, s6
	v_lshl_or_b32 v2, s2, 8, v0
	s_wait_kmcnt 0x0
	s_delay_alu instid0(VALU_DEP_1)
	v_mul_u64_e32 v[0:1], s[4:5], v[2:3]
	s_clause 0x1
	s_load_b64 s[2:3], s[0:1], 0x0
	s_load_b128 s[4:7], s[0:1], 0x10
	s_wait_kmcnt 0x0
	s_cmp_neq_f32 s3, 1.0
	v_cmp_gt_u32_e32 vcc_lo, s2, v2
	s_cselect_b32 s0, -1, 0
	s_delay_alu instid0(SALU_CYCLE_1)
	s_and_b32 s2, vcc_lo, s0
	s_lshl_b64 s[0:1], s[6:7], 1
	s_branch .LBB111_3
.LBB111_2:                              ;   in Loop: Header=BB111_3 Depth=1
	s_wait_xcnt 0x0
	s_or_b32 exec_lo, exec_lo, s6
	s_add_co_i32 s9, s9, 0x10000
	s_delay_alu instid0(SALU_CYCLE_1)
	s_cmp_lt_u32 s9, s8
	s_cbranch_scc0 .LBB111_5
.LBB111_3:                              ; =>This Inner Loop Header: Depth=1
	s_and_saveexec_b32 s6, s2
	s_cbranch_execz .LBB111_2
; %bb.4:                                ;   in Loop: Header=BB111_3 Depth=1
	s_load_b64 s[10:11], s[4:5], s9 offset:0x0 scale_offset
	s_wait_kmcnt 0x0
	s_add_nc_u64 s[10:11], s[10:11], s[0:1]
	s_delay_alu instid0(VALU_DEP_2) | instid1(SALU_CYCLE_1)
	v_lshl_add_u64 v[2:3], v[0:1], 1, s[10:11]
	flat_load_u16 v4, v[2:3]
	s_wait_loadcnt_dscnt 0x0
	v_fma_mixlo_f16 v4, s3, v4, 0 op_sel_hi:[0,1,0]
	flat_store_b16 v[2:3], v4
	s_branch .LBB111_2
.LBB111_5:
	s_endpgm
	.section	.rodata,"a",@progbits
	.p2align	6, 0x0
	.amdhsa_kernel _ZL19rocblas_scal_kernelIlLi256EDF16_ffPKPDF16_EviT3_lT4_lT_li
		.amdhsa_group_segment_fixed_size 0
		.amdhsa_private_segment_fixed_size 0
		.amdhsa_kernarg_size 52
		.amdhsa_user_sgpr_count 2
		.amdhsa_user_sgpr_dispatch_ptr 0
		.amdhsa_user_sgpr_queue_ptr 0
		.amdhsa_user_sgpr_kernarg_segment_ptr 1
		.amdhsa_user_sgpr_dispatch_id 0
		.amdhsa_user_sgpr_kernarg_preload_length 0
		.amdhsa_user_sgpr_kernarg_preload_offset 0
		.amdhsa_user_sgpr_private_segment_size 0
		.amdhsa_wavefront_size32 1
		.amdhsa_uses_dynamic_stack 0
		.amdhsa_enable_private_segment 0
		.amdhsa_system_sgpr_workgroup_id_x 1
		.amdhsa_system_sgpr_workgroup_id_y 0
		.amdhsa_system_sgpr_workgroup_id_z 1
		.amdhsa_system_sgpr_workgroup_info 0
		.amdhsa_system_vgpr_workitem_id 0
		.amdhsa_next_free_vgpr 5
		.amdhsa_next_free_sgpr 12
		.amdhsa_named_barrier_count 0
		.amdhsa_reserve_vcc 1
		.amdhsa_float_round_mode_32 0
		.amdhsa_float_round_mode_16_64 0
		.amdhsa_float_denorm_mode_32 3
		.amdhsa_float_denorm_mode_16_64 3
		.amdhsa_fp16_overflow 0
		.amdhsa_memory_ordered 1
		.amdhsa_forward_progress 1
		.amdhsa_inst_pref_size 3
		.amdhsa_round_robin_scheduling 0
		.amdhsa_exception_fp_ieee_invalid_op 0
		.amdhsa_exception_fp_denorm_src 0
		.amdhsa_exception_fp_ieee_div_zero 0
		.amdhsa_exception_fp_ieee_overflow 0
		.amdhsa_exception_fp_ieee_underflow 0
		.amdhsa_exception_fp_ieee_inexact 0
		.amdhsa_exception_int_div_zero 0
	.end_amdhsa_kernel
	.section	.text._ZL19rocblas_scal_kernelIlLi256EDF16_ffPKPDF16_EviT3_lT4_lT_li,"axG",@progbits,_ZL19rocblas_scal_kernelIlLi256EDF16_ffPKPDF16_EviT3_lT4_lT_li,comdat
.Lfunc_end111:
	.size	_ZL19rocblas_scal_kernelIlLi256EDF16_ffPKPDF16_EviT3_lT4_lT_li, .Lfunc_end111-_ZL19rocblas_scal_kernelIlLi256EDF16_ffPKPDF16_EviT3_lT4_lT_li
                                        ; -- End function
	.set _ZL19rocblas_scal_kernelIlLi256EDF16_ffPKPDF16_EviT3_lT4_lT_li.num_vgpr, 5
	.set _ZL19rocblas_scal_kernelIlLi256EDF16_ffPKPDF16_EviT3_lT4_lT_li.num_agpr, 0
	.set _ZL19rocblas_scal_kernelIlLi256EDF16_ffPKPDF16_EviT3_lT4_lT_li.numbered_sgpr, 12
	.set _ZL19rocblas_scal_kernelIlLi256EDF16_ffPKPDF16_EviT3_lT4_lT_li.num_named_barrier, 0
	.set _ZL19rocblas_scal_kernelIlLi256EDF16_ffPKPDF16_EviT3_lT4_lT_li.private_seg_size, 0
	.set _ZL19rocblas_scal_kernelIlLi256EDF16_ffPKPDF16_EviT3_lT4_lT_li.uses_vcc, 1
	.set _ZL19rocblas_scal_kernelIlLi256EDF16_ffPKPDF16_EviT3_lT4_lT_li.uses_flat_scratch, 0
	.set _ZL19rocblas_scal_kernelIlLi256EDF16_ffPKPDF16_EviT3_lT4_lT_li.has_dyn_sized_stack, 0
	.set _ZL19rocblas_scal_kernelIlLi256EDF16_ffPKPDF16_EviT3_lT4_lT_li.has_recursion, 0
	.set _ZL19rocblas_scal_kernelIlLi256EDF16_ffPKPDF16_EviT3_lT4_lT_li.has_indirect_call, 0
	.section	.AMDGPU.csdata,"",@progbits
; Kernel info:
; codeLenInByte = 292
; TotalNumSgprs: 14
; NumVgprs: 5
; ScratchSize: 0
; MemoryBound: 0
; FloatMode: 240
; IeeeMode: 1
; LDSByteSize: 0 bytes/workgroup (compile time only)
; SGPRBlocks: 0
; VGPRBlocks: 0
; NumSGPRsForWavesPerEU: 14
; NumVGPRsForWavesPerEU: 5
; NamedBarCnt: 0
; Occupancy: 16
; WaveLimiterHint : 1
; COMPUTE_PGM_RSRC2:SCRATCH_EN: 0
; COMPUTE_PGM_RSRC2:USER_SGPR: 2
; COMPUTE_PGM_RSRC2:TRAP_HANDLER: 0
; COMPUTE_PGM_RSRC2:TGID_X_EN: 1
; COMPUTE_PGM_RSRC2:TGID_Y_EN: 0
; COMPUTE_PGM_RSRC2:TGID_Z_EN: 1
; COMPUTE_PGM_RSRC2:TIDIG_COMP_CNT: 0
	.section	.text._ZL22rocblas_sscal_2_kernelILi256E16rocblas_bfloat16fPKS0_PKPS0_EviT2_lT3_lli,"axG",@progbits,_ZL22rocblas_sscal_2_kernelILi256E16rocblas_bfloat16fPKS0_PKPS0_EviT2_lT3_lli,comdat
	.globl	_ZL22rocblas_sscal_2_kernelILi256E16rocblas_bfloat16fPKS0_PKPS0_EviT2_lT3_lli ; -- Begin function _ZL22rocblas_sscal_2_kernelILi256E16rocblas_bfloat16fPKS0_PKPS0_EviT2_lT3_lli
	.p2align	8
	.type	_ZL22rocblas_sscal_2_kernelILi256E16rocblas_bfloat16fPKS0_PKPS0_EviT2_lT3_lli,@function
_ZL22rocblas_sscal_2_kernelILi256E16rocblas_bfloat16fPKS0_PKPS0_EviT2_lT3_lli: ; @_ZL22rocblas_sscal_2_kernelILi256E16rocblas_bfloat16fPKS0_PKPS0_EviT2_lT3_lli
; %bb.0:
	s_load_b32 s12, s[0:1], 0x30
	s_bfe_u32 s2, ttmp6, 0x40014
	s_lshr_b32 s3, ttmp7, 16
	s_add_co_i32 s2, s2, 1
	s_bfe_u32 s4, ttmp6, 0x40008
	s_mul_i32 s2, s3, s2
	s_getreg_b32 s13, hwreg(HW_REG_IB_STS2, 6, 4)
	s_add_co_i32 s4, s4, s2
	s_cmp_eq_u32 s13, 0
	s_cselect_b32 s2, s3, s4
	s_mov_b32 s3, 0
	s_wait_kmcnt 0x0
	s_cmp_ge_u32 s2, s12
	s_cbranch_scc1 .LBB112_21
; %bb.1:
	s_load_b32 s14, s[0:1], 0x0
	s_bfe_u32 s15, ttmp6, 0x4000c
	s_load_b256 s[4:11], s[0:1], 0x8
	s_add_co_i32 s15, s15, 1
	s_wait_xcnt 0x0
	s_and_b32 s0, ttmp6, 15
	s_mul_i32 s1, ttmp9, s15
	v_dual_mov_b32 v1, 0 :: v_dual_lshlrev_b32 v0, 1, v0
	s_add_co_i32 s0, s0, s1
	s_cmp_eq_u32 s13, 0
	s_cselect_b32 s0, ttmp9, s0
	s_delay_alu instid0(VALU_DEP_1) | instid1(SALU_CYCLE_1)
	v_lshl_or_b32 v0, s0, 9, v0
	s_delay_alu instid0(VALU_DEP_1)
	v_or_b32_e32 v2, 1, v0
	s_wait_kmcnt 0x0
	s_bitcmp1_b32 s14, 0
	s_cselect_b32 s1, -1, 0
	s_add_co_i32 s0, s14, -1
	s_lshl_b64 s[10:11], s[10:11], 1
	v_cmp_eq_u32_e32 vcc_lo, s0, v0
	v_cmp_gt_u32_e64 s0, s14, v2
	s_and_b32 s1, s1, vcc_lo
	s_branch .LBB112_5
.LBB112_2:                              ;   in Loop: Header=BB112_5 Depth=1
	s_or_b32 exec_lo, exec_lo, s14
	flat_store_d16_hi_b16 v[2:3], v5
.LBB112_3:                              ;   in Loop: Header=BB112_5 Depth=1
	s_wait_xcnt 0x0
	s_or_b32 exec_lo, exec_lo, s13
.LBB112_4:                              ;   in Loop: Header=BB112_5 Depth=1
	s_add_co_i32 s2, s2, 0x10000
	s_delay_alu instid0(SALU_CYCLE_1)
	s_cmp_lt_u32 s2, s12
	s_cbranch_scc0 .LBB112_21
.LBB112_5:                              ; =>This Inner Loop Header: Depth=1
	s_wait_xcnt 0x0
	s_mul_u64 s[14:15], s[6:7], s[2:3]
	s_delay_alu instid0(SALU_CYCLE_1) | instskip(NEXT) | instid1(SALU_CYCLE_1)
	s_lshl_b64 s[14:15], s[14:15], 1
	s_add_nc_u64 s[14:15], s[4:5], s[14:15]
	global_load_u16 v2, v1, s[14:15]
	s_wait_loadcnt 0x0
	v_lshlrev_b32_e32 v4, 16, v2
	s_delay_alu instid0(VALU_DEP_1)
	v_cmp_eq_f32_e32 vcc_lo, 1.0, v4
	s_cbranch_vccnz .LBB112_4
; %bb.6:                                ;   in Loop: Header=BB112_5 Depth=1
	s_wait_xcnt 0x0
	s_lshl_b64 s[14:15], s[2:3], 3
	s_delay_alu instid0(SALU_CYCLE_1) | instskip(SKIP_4) | instid1(SALU_CYCLE_1)
	s_add_nc_u64 s[14:15], s[8:9], s[14:15]
	s_load_b64 s[14:15], s[14:15], 0x0
	s_wait_kmcnt 0x0
	s_wait_xcnt 0x0
	s_add_nc_u64 s[14:15], s[14:15], s[10:11]
	v_lshl_add_u64 v[2:3], v[0:1], 1, s[14:15]
	s_and_saveexec_b32 s13, s0
	s_cbranch_execz .LBB112_16
; %bb.7:                                ;   in Loop: Header=BB112_5 Depth=1
	flat_load_u16 v5, v[2:3]
	s_wait_loadcnt_dscnt 0x0
	v_lshlrev_b32_e32 v5, 16, v5
	s_delay_alu instid0(VALU_DEP_1) | instskip(NEXT) | instid1(VALU_DEP_1)
	v_mul_f32_e32 v6, v4, v5
	v_and_b32_e32 v5, 0x7f800000, v6
	s_delay_alu instid0(VALU_DEP_1) | instskip(SKIP_2) | instid1(SALU_CYCLE_1)
	v_cmp_ne_u32_e32 vcc_lo, 0x7f800000, v5
                                        ; implicit-def: $vgpr5
	s_wait_xcnt 0x0
	s_and_saveexec_b32 s14, vcc_lo
	s_xor_b32 s14, exec_lo, s14
; %bb.8:                                ;   in Loop: Header=BB112_5 Depth=1
	v_bfe_u32 v5, v6, 16, 1
	s_delay_alu instid0(VALU_DEP_1)
	v_add3_u32 v5, v6, v5, 0x7fff
                                        ; implicit-def: $vgpr6
; %bb.9:                                ;   in Loop: Header=BB112_5 Depth=1
	s_and_not1_saveexec_b32 s14, s14
; %bb.10:                               ;   in Loop: Header=BB112_5 Depth=1
	v_and_b32_e32 v5, 0xffff, v6
	v_or_b32_e32 v7, 0x10000, v6
	s_delay_alu instid0(VALU_DEP_2) | instskip(NEXT) | instid1(VALU_DEP_2)
	v_cmp_eq_u32_e32 vcc_lo, 0, v5
	v_cndmask_b32_e32 v5, v7, v6, vcc_lo
; %bb.11:                               ;   in Loop: Header=BB112_5 Depth=1
	s_or_b32 exec_lo, exec_lo, s14
	flat_load_u16 v6, v[2:3] offset:2
	s_mov_b32 s14, exec_lo
	flat_store_d16_hi_b16 v[2:3], v5
                                        ; implicit-def: $vgpr5
	s_wait_loadcnt_dscnt 0x1
	v_lshlrev_b32_e32 v6, 16, v6
	s_delay_alu instid0(VALU_DEP_1) | instskip(NEXT) | instid1(VALU_DEP_1)
	v_mul_f32_e32 v6, v4, v6
	v_and_b32_e32 v7, 0x7f800000, v6
	s_wait_xcnt 0x0
	s_delay_alu instid0(VALU_DEP_1)
	v_cmpx_ne_u32_e32 0x7f800000, v7
	s_xor_b32 s14, exec_lo, s14
; %bb.12:                               ;   in Loop: Header=BB112_5 Depth=1
	v_bfe_u32 v5, v6, 16, 1
	s_delay_alu instid0(VALU_DEP_1)
	v_add3_u32 v5, v6, v5, 0x7fff
                                        ; implicit-def: $vgpr6
; %bb.13:                               ;   in Loop: Header=BB112_5 Depth=1
	s_and_not1_saveexec_b32 s14, s14
; %bb.14:                               ;   in Loop: Header=BB112_5 Depth=1
	v_and_b32_e32 v5, 0xffff, v6
	v_or_b32_e32 v7, 0x10000, v6
	s_delay_alu instid0(VALU_DEP_2) | instskip(NEXT) | instid1(VALU_DEP_2)
	v_cmp_eq_u32_e32 vcc_lo, 0, v5
	v_cndmask_b32_e32 v5, v7, v6, vcc_lo
; %bb.15:                               ;   in Loop: Header=BB112_5 Depth=1
	s_or_b32 exec_lo, exec_lo, s14
	flat_store_d16_hi_b16 v[2:3], v5 offset:2
.LBB112_16:                             ;   in Loop: Header=BB112_5 Depth=1
	s_wait_xcnt 0x0
	s_or_b32 exec_lo, exec_lo, s13
	s_and_saveexec_b32 s13, s1
	s_cbranch_execz .LBB112_3
; %bb.17:                               ;   in Loop: Header=BB112_5 Depth=1
	flat_load_u16 v5, v[2:3]
	s_wait_loadcnt_dscnt 0x0
	v_lshlrev_b32_e32 v5, 16, v5
	s_delay_alu instid0(VALU_DEP_1) | instskip(NEXT) | instid1(VALU_DEP_1)
	v_mul_f32_e32 v4, v4, v5
	v_and_b32_e32 v5, 0x7f800000, v4
	s_delay_alu instid0(VALU_DEP_1) | instskip(SKIP_2) | instid1(SALU_CYCLE_1)
	v_cmp_ne_u32_e32 vcc_lo, 0x7f800000, v5
                                        ; implicit-def: $vgpr5
	s_wait_xcnt 0x0
	s_and_saveexec_b32 s14, vcc_lo
	s_xor_b32 s14, exec_lo, s14
; %bb.18:                               ;   in Loop: Header=BB112_5 Depth=1
	v_bfe_u32 v5, v4, 16, 1
	s_delay_alu instid0(VALU_DEP_1)
	v_add3_u32 v5, v4, v5, 0x7fff
                                        ; implicit-def: $vgpr4
; %bb.19:                               ;   in Loop: Header=BB112_5 Depth=1
	s_and_not1_saveexec_b32 s14, s14
	s_cbranch_execz .LBB112_2
; %bb.20:                               ;   in Loop: Header=BB112_5 Depth=1
	v_and_b32_e32 v5, 0xffff, v4
	v_or_b32_e32 v6, 0x10000, v4
	s_delay_alu instid0(VALU_DEP_2) | instskip(NEXT) | instid1(VALU_DEP_2)
	v_cmp_eq_u32_e32 vcc_lo, 0, v5
	v_cndmask_b32_e32 v5, v6, v4, vcc_lo
	s_branch .LBB112_2
.LBB112_21:
	s_endpgm
	.section	.rodata,"a",@progbits
	.p2align	6, 0x0
	.amdhsa_kernel _ZL22rocblas_sscal_2_kernelILi256E16rocblas_bfloat16fPKS0_PKPS0_EviT2_lT3_lli
		.amdhsa_group_segment_fixed_size 0
		.amdhsa_private_segment_fixed_size 0
		.amdhsa_kernarg_size 52
		.amdhsa_user_sgpr_count 2
		.amdhsa_user_sgpr_dispatch_ptr 0
		.amdhsa_user_sgpr_queue_ptr 0
		.amdhsa_user_sgpr_kernarg_segment_ptr 1
		.amdhsa_user_sgpr_dispatch_id 0
		.amdhsa_user_sgpr_kernarg_preload_length 0
		.amdhsa_user_sgpr_kernarg_preload_offset 0
		.amdhsa_user_sgpr_private_segment_size 0
		.amdhsa_wavefront_size32 1
		.amdhsa_uses_dynamic_stack 0
		.amdhsa_enable_private_segment 0
		.amdhsa_system_sgpr_workgroup_id_x 1
		.amdhsa_system_sgpr_workgroup_id_y 0
		.amdhsa_system_sgpr_workgroup_id_z 1
		.amdhsa_system_sgpr_workgroup_info 0
		.amdhsa_system_vgpr_workitem_id 0
		.amdhsa_next_free_vgpr 8
		.amdhsa_next_free_sgpr 16
		.amdhsa_named_barrier_count 0
		.amdhsa_reserve_vcc 1
		.amdhsa_float_round_mode_32 0
		.amdhsa_float_round_mode_16_64 0
		.amdhsa_float_denorm_mode_32 3
		.amdhsa_float_denorm_mode_16_64 3
		.amdhsa_fp16_overflow 0
		.amdhsa_memory_ordered 1
		.amdhsa_forward_progress 1
		.amdhsa_inst_pref_size 6
		.amdhsa_round_robin_scheduling 0
		.amdhsa_exception_fp_ieee_invalid_op 0
		.amdhsa_exception_fp_denorm_src 0
		.amdhsa_exception_fp_ieee_div_zero 0
		.amdhsa_exception_fp_ieee_overflow 0
		.amdhsa_exception_fp_ieee_underflow 0
		.amdhsa_exception_fp_ieee_inexact 0
		.amdhsa_exception_int_div_zero 0
	.end_amdhsa_kernel
	.section	.text._ZL22rocblas_sscal_2_kernelILi256E16rocblas_bfloat16fPKS0_PKPS0_EviT2_lT3_lli,"axG",@progbits,_ZL22rocblas_sscal_2_kernelILi256E16rocblas_bfloat16fPKS0_PKPS0_EviT2_lT3_lli,comdat
.Lfunc_end112:
	.size	_ZL22rocblas_sscal_2_kernelILi256E16rocblas_bfloat16fPKS0_PKPS0_EviT2_lT3_lli, .Lfunc_end112-_ZL22rocblas_sscal_2_kernelILi256E16rocblas_bfloat16fPKS0_PKPS0_EviT2_lT3_lli
                                        ; -- End function
	.set _ZL22rocblas_sscal_2_kernelILi256E16rocblas_bfloat16fPKS0_PKPS0_EviT2_lT3_lli.num_vgpr, 8
	.set _ZL22rocblas_sscal_2_kernelILi256E16rocblas_bfloat16fPKS0_PKPS0_EviT2_lT3_lli.num_agpr, 0
	.set _ZL22rocblas_sscal_2_kernelILi256E16rocblas_bfloat16fPKS0_PKPS0_EviT2_lT3_lli.numbered_sgpr, 16
	.set _ZL22rocblas_sscal_2_kernelILi256E16rocblas_bfloat16fPKS0_PKPS0_EviT2_lT3_lli.num_named_barrier, 0
	.set _ZL22rocblas_sscal_2_kernelILi256E16rocblas_bfloat16fPKS0_PKPS0_EviT2_lT3_lli.private_seg_size, 0
	.set _ZL22rocblas_sscal_2_kernelILi256E16rocblas_bfloat16fPKS0_PKPS0_EviT2_lT3_lli.uses_vcc, 1
	.set _ZL22rocblas_sscal_2_kernelILi256E16rocblas_bfloat16fPKS0_PKPS0_EviT2_lT3_lli.uses_flat_scratch, 0
	.set _ZL22rocblas_sscal_2_kernelILi256E16rocblas_bfloat16fPKS0_PKPS0_EviT2_lT3_lli.has_dyn_sized_stack, 0
	.set _ZL22rocblas_sscal_2_kernelILi256E16rocblas_bfloat16fPKS0_PKPS0_EviT2_lT3_lli.has_recursion, 0
	.set _ZL22rocblas_sscal_2_kernelILi256E16rocblas_bfloat16fPKS0_PKPS0_EviT2_lT3_lli.has_indirect_call, 0
	.section	.AMDGPU.csdata,"",@progbits
; Kernel info:
; codeLenInByte = 744
; TotalNumSgprs: 18
; NumVgprs: 8
; ScratchSize: 0
; MemoryBound: 0
; FloatMode: 240
; IeeeMode: 1
; LDSByteSize: 0 bytes/workgroup (compile time only)
; SGPRBlocks: 0
; VGPRBlocks: 0
; NumSGPRsForWavesPerEU: 18
; NumVGPRsForWavesPerEU: 8
; NamedBarCnt: 0
; Occupancy: 16
; WaveLimiterHint : 1
; COMPUTE_PGM_RSRC2:SCRATCH_EN: 0
; COMPUTE_PGM_RSRC2:USER_SGPR: 2
; COMPUTE_PGM_RSRC2:TRAP_HANDLER: 0
; COMPUTE_PGM_RSRC2:TGID_X_EN: 1
; COMPUTE_PGM_RSRC2:TGID_Y_EN: 0
; COMPUTE_PGM_RSRC2:TGID_Z_EN: 1
; COMPUTE_PGM_RSRC2:TIDIG_COMP_CNT: 0
	.section	.text._ZL22rocblas_sscal_2_kernelILi256E16rocblas_bfloat16fS0_PKPS0_EviT2_lT3_lli,"axG",@progbits,_ZL22rocblas_sscal_2_kernelILi256E16rocblas_bfloat16fS0_PKPS0_EviT2_lT3_lli,comdat
	.globl	_ZL22rocblas_sscal_2_kernelILi256E16rocblas_bfloat16fS0_PKPS0_EviT2_lT3_lli ; -- Begin function _ZL22rocblas_sscal_2_kernelILi256E16rocblas_bfloat16fS0_PKPS0_EviT2_lT3_lli
	.p2align	8
	.type	_ZL22rocblas_sscal_2_kernelILi256E16rocblas_bfloat16fS0_PKPS0_EviT2_lT3_lli,@function
_ZL22rocblas_sscal_2_kernelILi256E16rocblas_bfloat16fS0_PKPS0_EviT2_lT3_lli: ; @_ZL22rocblas_sscal_2_kernelILi256E16rocblas_bfloat16fS0_PKPS0_EviT2_lT3_lli
; %bb.0:
	s_load_b32 s8, s[0:1], 0x28
	s_bfe_u32 s2, ttmp6, 0x40014
	s_lshr_b32 s3, ttmp7, 16
	s_add_co_i32 s2, s2, 1
	s_bfe_u32 s5, ttmp6, 0x40008
	s_mul_i32 s4, s3, s2
	s_getreg_b32 s2, hwreg(HW_REG_IB_STS2, 6, 4)
	s_add_co_i32 s5, s5, s4
	s_cmp_eq_u32 s2, 0
	s_cselect_b32 s9, s3, s5
	s_wait_kmcnt 0x0
	s_cmp_ge_u32 s9, s8
	s_cbranch_scc1 .LBB113_21
; %bb.1:
	s_clause 0x1
	s_load_b64 s[12:13], s[0:1], 0x0
	s_load_b128 s[4:7], s[0:1], 0x10
	s_bfe_u32 s3, ttmp6, 0x4000c
	s_and_b32 s10, ttmp6, 15
	s_add_co_i32 s3, s3, 1
	v_dual_mov_b32 v1, 0 :: v_dual_lshlrev_b32 v0, 1, v0
	s_mul_i32 s3, ttmp9, s3
	s_delay_alu instid0(SALU_CYCLE_1) | instskip(SKIP_3) | instid1(SALU_CYCLE_1)
	s_add_co_i32 s10, s10, s3
	s_cmp_eq_u32 s2, 0
	s_wait_xcnt 0x0
	s_cselect_b32 s0, ttmp9, s10
	v_lshl_or_b32 v0, s0, 9, v0
	s_delay_alu instid0(VALU_DEP_1) | instskip(SKIP_2) | instid1(SALU_CYCLE_1)
	v_or_b32_e32 v2, 1, v0
	s_wait_kmcnt 0x0
	s_lshl_b32 s1, s13, 16
	s_cmp_neq_f32 s1, 1.0
	s_cselect_b32 s10, -1, 0
	s_bitcmp1_b32 s12, 0
	s_cselect_b32 s2, -1, 0
	s_add_co_i32 s0, s12, -1
	s_delay_alu instid0(SALU_CYCLE_1)
	v_cmp_eq_u32_e32 vcc_lo, s0, v0
	v_cmp_gt_u32_e64 s0, s12, v2
	s_and_b32 s11, s2, vcc_lo
	s_lshl_b64 s[2:3], s[6:7], 1
	s_branch .LBB113_5
.LBB113_2:                              ;   in Loop: Header=BB113_5 Depth=1
	s_or_b32 exec_lo, exec_lo, s7
	flat_store_d16_hi_b16 v[2:3], v5
.LBB113_3:                              ;   in Loop: Header=BB113_5 Depth=1
	s_wait_xcnt 0x0
	s_or_b32 exec_lo, exec_lo, s6
.LBB113_4:                              ;   in Loop: Header=BB113_5 Depth=1
	s_add_co_i32 s9, s9, 0x10000
	s_delay_alu instid0(SALU_CYCLE_1)
	s_cmp_lt_u32 s9, s8
	s_cbranch_scc0 .LBB113_21
.LBB113_5:                              ; =>This Inner Loop Header: Depth=1
	s_and_not1_b32 vcc_lo, exec_lo, s10
	s_cbranch_vccnz .LBB113_4
; %bb.6:                                ;   in Loop: Header=BB113_5 Depth=1
	s_load_b64 s[6:7], s[4:5], s9 offset:0x0 scale_offset
	s_wait_kmcnt 0x0
	s_add_nc_u64 s[6:7], s[6:7], s[2:3]
	s_delay_alu instid0(SALU_CYCLE_1)
	v_lshl_add_u64 v[2:3], v[0:1], 1, s[6:7]
	s_and_saveexec_b32 s6, s0
	s_cbranch_execz .LBB113_16
; %bb.7:                                ;   in Loop: Header=BB113_5 Depth=1
	flat_load_u16 v4, v[2:3]
	s_wait_loadcnt_dscnt 0x0
	v_lshlrev_b32_e32 v4, 16, v4
	s_delay_alu instid0(VALU_DEP_1) | instskip(NEXT) | instid1(VALU_DEP_1)
	v_mul_f32_e32 v5, s1, v4
	v_and_b32_e32 v4, 0x7f800000, v5
	s_delay_alu instid0(VALU_DEP_1) | instskip(SKIP_2) | instid1(SALU_CYCLE_1)
	v_cmp_ne_u32_e32 vcc_lo, 0x7f800000, v4
                                        ; implicit-def: $vgpr4
	s_wait_xcnt 0x0
	s_and_saveexec_b32 s7, vcc_lo
	s_xor_b32 s7, exec_lo, s7
; %bb.8:                                ;   in Loop: Header=BB113_5 Depth=1
	v_bfe_u32 v4, v5, 16, 1
	s_delay_alu instid0(VALU_DEP_1)
	v_add3_u32 v4, v5, v4, 0x7fff
                                        ; implicit-def: $vgpr5
; %bb.9:                                ;   in Loop: Header=BB113_5 Depth=1
	s_and_not1_saveexec_b32 s7, s7
; %bb.10:                               ;   in Loop: Header=BB113_5 Depth=1
	v_and_b32_e32 v4, 0xffff, v5
	v_or_b32_e32 v6, 0x10000, v5
	s_delay_alu instid0(VALU_DEP_2) | instskip(NEXT) | instid1(VALU_DEP_2)
	v_cmp_eq_u32_e32 vcc_lo, 0, v4
	v_cndmask_b32_e32 v4, v6, v5, vcc_lo
; %bb.11:                               ;   in Loop: Header=BB113_5 Depth=1
	s_or_b32 exec_lo, exec_lo, s7
	flat_load_u16 v5, v[2:3] offset:2
	s_mov_b32 s7, exec_lo
	flat_store_d16_hi_b16 v[2:3], v4
                                        ; implicit-def: $vgpr4
	s_wait_loadcnt_dscnt 0x1
	v_lshlrev_b32_e32 v5, 16, v5
	s_delay_alu instid0(VALU_DEP_1) | instskip(NEXT) | instid1(VALU_DEP_1)
	v_mul_f32_e32 v5, s1, v5
	v_and_b32_e32 v6, 0x7f800000, v5
	s_wait_xcnt 0x0
	s_delay_alu instid0(VALU_DEP_1)
	v_cmpx_ne_u32_e32 0x7f800000, v6
	s_xor_b32 s7, exec_lo, s7
; %bb.12:                               ;   in Loop: Header=BB113_5 Depth=1
	v_bfe_u32 v4, v5, 16, 1
	s_delay_alu instid0(VALU_DEP_1)
	v_add3_u32 v4, v5, v4, 0x7fff
                                        ; implicit-def: $vgpr5
; %bb.13:                               ;   in Loop: Header=BB113_5 Depth=1
	s_and_not1_saveexec_b32 s7, s7
; %bb.14:                               ;   in Loop: Header=BB113_5 Depth=1
	v_and_b32_e32 v4, 0xffff, v5
	v_or_b32_e32 v6, 0x10000, v5
	s_delay_alu instid0(VALU_DEP_2) | instskip(NEXT) | instid1(VALU_DEP_2)
	v_cmp_eq_u32_e32 vcc_lo, 0, v4
	v_cndmask_b32_e32 v4, v6, v5, vcc_lo
; %bb.15:                               ;   in Loop: Header=BB113_5 Depth=1
	s_or_b32 exec_lo, exec_lo, s7
	flat_store_d16_hi_b16 v[2:3], v4 offset:2
.LBB113_16:                             ;   in Loop: Header=BB113_5 Depth=1
	s_wait_xcnt 0x0
	s_or_b32 exec_lo, exec_lo, s6
	s_and_saveexec_b32 s6, s11
	s_cbranch_execz .LBB113_3
; %bb.17:                               ;   in Loop: Header=BB113_5 Depth=1
	flat_load_u16 v4, v[2:3]
	s_wait_loadcnt_dscnt 0x0
	v_lshlrev_b32_e32 v4, 16, v4
	s_delay_alu instid0(VALU_DEP_1) | instskip(NEXT) | instid1(VALU_DEP_1)
	v_mul_f32_e32 v4, s1, v4
	v_and_b32_e32 v5, 0x7f800000, v4
	s_delay_alu instid0(VALU_DEP_1) | instskip(SKIP_2) | instid1(SALU_CYCLE_1)
	v_cmp_ne_u32_e32 vcc_lo, 0x7f800000, v5
                                        ; implicit-def: $vgpr5
	s_wait_xcnt 0x0
	s_and_saveexec_b32 s7, vcc_lo
	s_xor_b32 s7, exec_lo, s7
; %bb.18:                               ;   in Loop: Header=BB113_5 Depth=1
	v_bfe_u32 v5, v4, 16, 1
	s_delay_alu instid0(VALU_DEP_1)
	v_add3_u32 v5, v4, v5, 0x7fff
                                        ; implicit-def: $vgpr4
; %bb.19:                               ;   in Loop: Header=BB113_5 Depth=1
	s_and_not1_saveexec_b32 s7, s7
	s_cbranch_execz .LBB113_2
; %bb.20:                               ;   in Loop: Header=BB113_5 Depth=1
	v_and_b32_e32 v5, 0xffff, v4
	v_or_b32_e32 v6, 0x10000, v4
	s_delay_alu instid0(VALU_DEP_2) | instskip(NEXT) | instid1(VALU_DEP_2)
	v_cmp_eq_u32_e32 vcc_lo, 0, v5
	v_cndmask_b32_e32 v5, v6, v4, vcc_lo
	s_branch .LBB113_2
.LBB113_21:
	s_endpgm
	.section	.rodata,"a",@progbits
	.p2align	6, 0x0
	.amdhsa_kernel _ZL22rocblas_sscal_2_kernelILi256E16rocblas_bfloat16fS0_PKPS0_EviT2_lT3_lli
		.amdhsa_group_segment_fixed_size 0
		.amdhsa_private_segment_fixed_size 0
		.amdhsa_kernarg_size 44
		.amdhsa_user_sgpr_count 2
		.amdhsa_user_sgpr_dispatch_ptr 0
		.amdhsa_user_sgpr_queue_ptr 0
		.amdhsa_user_sgpr_kernarg_segment_ptr 1
		.amdhsa_user_sgpr_dispatch_id 0
		.amdhsa_user_sgpr_kernarg_preload_length 0
		.amdhsa_user_sgpr_kernarg_preload_offset 0
		.amdhsa_user_sgpr_private_segment_size 0
		.amdhsa_wavefront_size32 1
		.amdhsa_uses_dynamic_stack 0
		.amdhsa_enable_private_segment 0
		.amdhsa_system_sgpr_workgroup_id_x 1
		.amdhsa_system_sgpr_workgroup_id_y 0
		.amdhsa_system_sgpr_workgroup_id_z 1
		.amdhsa_system_sgpr_workgroup_info 0
		.amdhsa_system_vgpr_workitem_id 0
		.amdhsa_next_free_vgpr 7
		.amdhsa_next_free_sgpr 14
		.amdhsa_named_barrier_count 0
		.amdhsa_reserve_vcc 1
		.amdhsa_float_round_mode_32 0
		.amdhsa_float_round_mode_16_64 0
		.amdhsa_float_denorm_mode_32 3
		.amdhsa_float_denorm_mode_16_64 3
		.amdhsa_fp16_overflow 0
		.amdhsa_memory_ordered 1
		.amdhsa_forward_progress 1
		.amdhsa_inst_pref_size 6
		.amdhsa_round_robin_scheduling 0
		.amdhsa_exception_fp_ieee_invalid_op 0
		.amdhsa_exception_fp_denorm_src 0
		.amdhsa_exception_fp_ieee_div_zero 0
		.amdhsa_exception_fp_ieee_overflow 0
		.amdhsa_exception_fp_ieee_underflow 0
		.amdhsa_exception_fp_ieee_inexact 0
		.amdhsa_exception_int_div_zero 0
	.end_amdhsa_kernel
	.section	.text._ZL22rocblas_sscal_2_kernelILi256E16rocblas_bfloat16fS0_PKPS0_EviT2_lT3_lli,"axG",@progbits,_ZL22rocblas_sscal_2_kernelILi256E16rocblas_bfloat16fS0_PKPS0_EviT2_lT3_lli,comdat
.Lfunc_end113:
	.size	_ZL22rocblas_sscal_2_kernelILi256E16rocblas_bfloat16fS0_PKPS0_EviT2_lT3_lli, .Lfunc_end113-_ZL22rocblas_sscal_2_kernelILi256E16rocblas_bfloat16fS0_PKPS0_EviT2_lT3_lli
                                        ; -- End function
	.set _ZL22rocblas_sscal_2_kernelILi256E16rocblas_bfloat16fS0_PKPS0_EviT2_lT3_lli.num_vgpr, 7
	.set _ZL22rocblas_sscal_2_kernelILi256E16rocblas_bfloat16fS0_PKPS0_EviT2_lT3_lli.num_agpr, 0
	.set _ZL22rocblas_sscal_2_kernelILi256E16rocblas_bfloat16fS0_PKPS0_EviT2_lT3_lli.numbered_sgpr, 14
	.set _ZL22rocblas_sscal_2_kernelILi256E16rocblas_bfloat16fS0_PKPS0_EviT2_lT3_lli.num_named_barrier, 0
	.set _ZL22rocblas_sscal_2_kernelILi256E16rocblas_bfloat16fS0_PKPS0_EviT2_lT3_lli.private_seg_size, 0
	.set _ZL22rocblas_sscal_2_kernelILi256E16rocblas_bfloat16fS0_PKPS0_EviT2_lT3_lli.uses_vcc, 1
	.set _ZL22rocblas_sscal_2_kernelILi256E16rocblas_bfloat16fS0_PKPS0_EviT2_lT3_lli.uses_flat_scratch, 0
	.set _ZL22rocblas_sscal_2_kernelILi256E16rocblas_bfloat16fS0_PKPS0_EviT2_lT3_lli.has_dyn_sized_stack, 0
	.set _ZL22rocblas_sscal_2_kernelILi256E16rocblas_bfloat16fS0_PKPS0_EviT2_lT3_lli.has_recursion, 0
	.set _ZL22rocblas_sscal_2_kernelILi256E16rocblas_bfloat16fS0_PKPS0_EviT2_lT3_lli.has_indirect_call, 0
	.section	.AMDGPU.csdata,"",@progbits
; Kernel info:
; codeLenInByte = 700
; TotalNumSgprs: 16
; NumVgprs: 7
; ScratchSize: 0
; MemoryBound: 0
; FloatMode: 240
; IeeeMode: 1
; LDSByteSize: 0 bytes/workgroup (compile time only)
; SGPRBlocks: 0
; VGPRBlocks: 0
; NumSGPRsForWavesPerEU: 16
; NumVGPRsForWavesPerEU: 7
; NamedBarCnt: 0
; Occupancy: 16
; WaveLimiterHint : 1
; COMPUTE_PGM_RSRC2:SCRATCH_EN: 0
; COMPUTE_PGM_RSRC2:USER_SGPR: 2
; COMPUTE_PGM_RSRC2:TRAP_HANDLER: 0
; COMPUTE_PGM_RSRC2:TGID_X_EN: 1
; COMPUTE_PGM_RSRC2:TGID_Y_EN: 0
; COMPUTE_PGM_RSRC2:TGID_Z_EN: 1
; COMPUTE_PGM_RSRC2:TIDIG_COMP_CNT: 0
	.section	.text._ZL19rocblas_scal_kernelIiLi256E16rocblas_bfloat16fPKS0_PKPS0_EviT3_lT4_lT_li,"axG",@progbits,_ZL19rocblas_scal_kernelIiLi256E16rocblas_bfloat16fPKS0_PKPS0_EviT3_lT4_lT_li,comdat
	.globl	_ZL19rocblas_scal_kernelIiLi256E16rocblas_bfloat16fPKS0_PKPS0_EviT3_lT4_lT_li ; -- Begin function _ZL19rocblas_scal_kernelIiLi256E16rocblas_bfloat16fPKS0_PKPS0_EviT3_lT4_lT_li
	.p2align	8
	.type	_ZL19rocblas_scal_kernelIiLi256E16rocblas_bfloat16fPKS0_PKPS0_EviT3_lT4_lT_li,@function
_ZL19rocblas_scal_kernelIiLi256E16rocblas_bfloat16fPKS0_PKPS0_EviT3_lT4_lT_li: ; @_ZL19rocblas_scal_kernelIiLi256E16rocblas_bfloat16fPKS0_PKPS0_EviT3_lT4_lT_li
; %bb.0:
	s_load_b32 s12, s[0:1], 0x38
	s_bfe_u32 s2, ttmp6, 0x40014
	s_lshr_b32 s3, ttmp7, 16
	s_add_co_i32 s2, s2, 1
	s_bfe_u32 s5, ttmp6, 0x40008
	s_mul_i32 s2, s3, s2
	s_getreg_b32 s4, hwreg(HW_REG_IB_STS2, 6, 4)
	s_add_co_i32 s5, s5, s2
	s_cmp_eq_u32 s4, 0
	s_cselect_b32 s2, s3, s5
	s_mov_b32 s3, 0
	s_wait_kmcnt 0x0
	s_cmp_ge_u32 s2, s12
	s_cbranch_scc1 .LBB114_9
; %bb.1:
	s_load_b32 s6, s[0:1], 0x28
	s_bfe_u32 s5, ttmp6, 0x4000c
	s_and_b32 s7, ttmp6, 15
	s_add_co_i32 s5, s5, 1
	v_mov_b32_e32 v1, 0
	s_mul_i32 s5, ttmp9, s5
	s_delay_alu instid0(SALU_CYCLE_1) | instskip(SKIP_4) | instid1(SALU_CYCLE_1)
	s_add_co_i32 s5, s7, s5
	s_wait_kmcnt 0x0
	s_ashr_i32 s7, s6, 31
	s_cmp_eq_u32 s4, 0
	s_cselect_b32 s4, ttmp9, s5
	v_lshl_or_b32 v0, s4, 8, v0
	s_delay_alu instid0(VALU_DEP_1)
	v_mul_u64_e32 v[2:3], s[6:7], v[0:1]
	s_clause 0x1
	s_load_b32 s13, s[0:1], 0x0
	s_load_b256 s[4:11], s[0:1], 0x8
	s_wait_kmcnt 0x0
	v_cmp_gt_u32_e32 vcc_lo, s13, v0
	s_lshl_b64 s[10:11], s[10:11], 1
	s_branch .LBB114_4
.LBB114_2:                              ;   in Loop: Header=BB114_4 Depth=1
	s_or_b32 exec_lo, exec_lo, s13
	flat_store_d16_hi_b16 v[4:5], v6
.LBB114_3:                              ;   in Loop: Header=BB114_4 Depth=1
	s_wait_xcnt 0x0
	s_or_b32 exec_lo, exec_lo, s1
	s_add_co_i32 s2, s2, 0x10000
	s_delay_alu instid0(SALU_CYCLE_1)
	s_cmp_lt_u32 s2, s12
	s_cbranch_scc0 .LBB114_9
.LBB114_4:                              ; =>This Inner Loop Header: Depth=1
	s_mul_u64 s[0:1], s[6:7], s[2:3]
	s_delay_alu instid0(SALU_CYCLE_1) | instskip(NEXT) | instid1(SALU_CYCLE_1)
	s_lshl_b64 s[0:1], s[0:1], 1
	s_add_nc_u64 s[0:1], s[4:5], s[0:1]
	global_load_u16 v0, v1, s[0:1]
	s_wait_loadcnt 0x0
	s_wait_xcnt 0x0
	v_readfirstlane_b32 s0, v0
	s_lshl_b32 s0, s0, 16
	s_delay_alu instid0(SALU_CYCLE_1) | instskip(SKIP_1) | instid1(SALU_CYCLE_1)
	s_cmp_neq_f32 s0, 1.0
	s_cselect_b32 s1, -1, 0
	s_and_b32 s13, vcc_lo, s1
	s_delay_alu instid0(SALU_CYCLE_1)
	s_and_saveexec_b32 s1, s13
	s_cbranch_execz .LBB114_3
; %bb.5:                                ;   in Loop: Header=BB114_4 Depth=1
	s_lshl_b64 s[14:15], s[2:3], 3
	s_delay_alu instid0(SALU_CYCLE_1) | instskip(SKIP_4) | instid1(SALU_CYCLE_1)
	s_add_nc_u64 s[14:15], s[8:9], s[14:15]
	s_load_b64 s[14:15], s[14:15], 0x0
	s_wait_kmcnt 0x0
	s_wait_xcnt 0x0
	s_add_nc_u64 s[14:15], s[14:15], s[10:11]
	v_lshl_add_u64 v[4:5], v[2:3], 1, s[14:15]
	flat_load_u16 v0, v[4:5]
	s_wait_loadcnt_dscnt 0x0
	v_lshlrev_b32_e32 v0, 16, v0
	s_delay_alu instid0(VALU_DEP_1) | instskip(NEXT) | instid1(VALU_DEP_1)
	v_mul_f32_e32 v0, s0, v0
	v_and_b32_e32 v6, 0x7f800000, v0
	s_delay_alu instid0(VALU_DEP_1) | instskip(SKIP_2) | instid1(SALU_CYCLE_1)
	v_cmp_ne_u32_e64 s0, 0x7f800000, v6
                                        ; implicit-def: $vgpr6
	s_wait_xcnt 0x0
	s_and_saveexec_b32 s13, s0
	s_xor_b32 s0, exec_lo, s13
; %bb.6:                                ;   in Loop: Header=BB114_4 Depth=1
	v_bfe_u32 v6, v0, 16, 1
	s_delay_alu instid0(VALU_DEP_1)
	v_add3_u32 v6, v0, v6, 0x7fff
                                        ; implicit-def: $vgpr0
; %bb.7:                                ;   in Loop: Header=BB114_4 Depth=1
	s_and_not1_saveexec_b32 s13, s0
	s_cbranch_execz .LBB114_2
; %bb.8:                                ;   in Loop: Header=BB114_4 Depth=1
	v_and_b32_e32 v6, 0xffff, v0
	v_or_b32_e32 v7, 0x10000, v0
	s_delay_alu instid0(VALU_DEP_2) | instskip(NEXT) | instid1(VALU_DEP_1)
	v_cmp_eq_u32_e64 s0, 0, v6
	v_cndmask_b32_e64 v6, v7, v0, s0
	s_branch .LBB114_2
.LBB114_9:
	s_endpgm
	.section	.rodata,"a",@progbits
	.p2align	6, 0x0
	.amdhsa_kernel _ZL19rocblas_scal_kernelIiLi256E16rocblas_bfloat16fPKS0_PKPS0_EviT3_lT4_lT_li
		.amdhsa_group_segment_fixed_size 0
		.amdhsa_private_segment_fixed_size 0
		.amdhsa_kernarg_size 60
		.amdhsa_user_sgpr_count 2
		.amdhsa_user_sgpr_dispatch_ptr 0
		.amdhsa_user_sgpr_queue_ptr 0
		.amdhsa_user_sgpr_kernarg_segment_ptr 1
		.amdhsa_user_sgpr_dispatch_id 0
		.amdhsa_user_sgpr_kernarg_preload_length 0
		.amdhsa_user_sgpr_kernarg_preload_offset 0
		.amdhsa_user_sgpr_private_segment_size 0
		.amdhsa_wavefront_size32 1
		.amdhsa_uses_dynamic_stack 0
		.amdhsa_enable_private_segment 0
		.amdhsa_system_sgpr_workgroup_id_x 1
		.amdhsa_system_sgpr_workgroup_id_y 0
		.amdhsa_system_sgpr_workgroup_id_z 1
		.amdhsa_system_sgpr_workgroup_info 0
		.amdhsa_system_vgpr_workitem_id 0
		.amdhsa_next_free_vgpr 8
		.amdhsa_next_free_sgpr 16
		.amdhsa_named_barrier_count 0
		.amdhsa_reserve_vcc 1
		.amdhsa_float_round_mode_32 0
		.amdhsa_float_round_mode_16_64 0
		.amdhsa_float_denorm_mode_32 3
		.amdhsa_float_denorm_mode_16_64 3
		.amdhsa_fp16_overflow 0
		.amdhsa_memory_ordered 1
		.amdhsa_forward_progress 1
		.amdhsa_inst_pref_size 4
		.amdhsa_round_robin_scheduling 0
		.amdhsa_exception_fp_ieee_invalid_op 0
		.amdhsa_exception_fp_denorm_src 0
		.amdhsa_exception_fp_ieee_div_zero 0
		.amdhsa_exception_fp_ieee_overflow 0
		.amdhsa_exception_fp_ieee_underflow 0
		.amdhsa_exception_fp_ieee_inexact 0
		.amdhsa_exception_int_div_zero 0
	.end_amdhsa_kernel
	.section	.text._ZL19rocblas_scal_kernelIiLi256E16rocblas_bfloat16fPKS0_PKPS0_EviT3_lT4_lT_li,"axG",@progbits,_ZL19rocblas_scal_kernelIiLi256E16rocblas_bfloat16fPKS0_PKPS0_EviT3_lT4_lT_li,comdat
.Lfunc_end114:
	.size	_ZL19rocblas_scal_kernelIiLi256E16rocblas_bfloat16fPKS0_PKPS0_EviT3_lT4_lT_li, .Lfunc_end114-_ZL19rocblas_scal_kernelIiLi256E16rocblas_bfloat16fPKS0_PKPS0_EviT3_lT4_lT_li
                                        ; -- End function
	.set _ZL19rocblas_scal_kernelIiLi256E16rocblas_bfloat16fPKS0_PKPS0_EviT3_lT4_lT_li.num_vgpr, 8
	.set _ZL19rocblas_scal_kernelIiLi256E16rocblas_bfloat16fPKS0_PKPS0_EviT3_lT4_lT_li.num_agpr, 0
	.set _ZL19rocblas_scal_kernelIiLi256E16rocblas_bfloat16fPKS0_PKPS0_EviT3_lT4_lT_li.numbered_sgpr, 16
	.set _ZL19rocblas_scal_kernelIiLi256E16rocblas_bfloat16fPKS0_PKPS0_EviT3_lT4_lT_li.num_named_barrier, 0
	.set _ZL19rocblas_scal_kernelIiLi256E16rocblas_bfloat16fPKS0_PKPS0_EviT3_lT4_lT_li.private_seg_size, 0
	.set _ZL19rocblas_scal_kernelIiLi256E16rocblas_bfloat16fPKS0_PKPS0_EviT3_lT4_lT_li.uses_vcc, 1
	.set _ZL19rocblas_scal_kernelIiLi256E16rocblas_bfloat16fPKS0_PKPS0_EviT3_lT4_lT_li.uses_flat_scratch, 0
	.set _ZL19rocblas_scal_kernelIiLi256E16rocblas_bfloat16fPKS0_PKPS0_EviT3_lT4_lT_li.has_dyn_sized_stack, 0
	.set _ZL19rocblas_scal_kernelIiLi256E16rocblas_bfloat16fPKS0_PKPS0_EviT3_lT4_lT_li.has_recursion, 0
	.set _ZL19rocblas_scal_kernelIiLi256E16rocblas_bfloat16fPKS0_PKPS0_EviT3_lT4_lT_li.has_indirect_call, 0
	.section	.AMDGPU.csdata,"",@progbits
; Kernel info:
; codeLenInByte = 472
; TotalNumSgprs: 18
; NumVgprs: 8
; ScratchSize: 0
; MemoryBound: 0
; FloatMode: 240
; IeeeMode: 1
; LDSByteSize: 0 bytes/workgroup (compile time only)
; SGPRBlocks: 0
; VGPRBlocks: 0
; NumSGPRsForWavesPerEU: 18
; NumVGPRsForWavesPerEU: 8
; NamedBarCnt: 0
; Occupancy: 16
; WaveLimiterHint : 1
; COMPUTE_PGM_RSRC2:SCRATCH_EN: 0
; COMPUTE_PGM_RSRC2:USER_SGPR: 2
; COMPUTE_PGM_RSRC2:TRAP_HANDLER: 0
; COMPUTE_PGM_RSRC2:TGID_X_EN: 1
; COMPUTE_PGM_RSRC2:TGID_Y_EN: 0
; COMPUTE_PGM_RSRC2:TGID_Z_EN: 1
; COMPUTE_PGM_RSRC2:TIDIG_COMP_CNT: 0
	.section	.text._ZL19rocblas_scal_kernelIiLi256E16rocblas_bfloat16fS0_PKPS0_EviT3_lT4_lT_li,"axG",@progbits,_ZL19rocblas_scal_kernelIiLi256E16rocblas_bfloat16fS0_PKPS0_EviT3_lT4_lT_li,comdat
	.globl	_ZL19rocblas_scal_kernelIiLi256E16rocblas_bfloat16fS0_PKPS0_EviT3_lT4_lT_li ; -- Begin function _ZL19rocblas_scal_kernelIiLi256E16rocblas_bfloat16fS0_PKPS0_EviT3_lT4_lT_li
	.p2align	8
	.type	_ZL19rocblas_scal_kernelIiLi256E16rocblas_bfloat16fS0_PKPS0_EviT3_lT4_lT_li,@function
_ZL19rocblas_scal_kernelIiLi256E16rocblas_bfloat16fS0_PKPS0_EviT3_lT4_lT_li: ; @_ZL19rocblas_scal_kernelIiLi256E16rocblas_bfloat16fS0_PKPS0_EviT3_lT4_lT_li
; %bb.0:
	s_load_b32 s2, s[0:1], 0x30
	s_bfe_u32 s3, ttmp6, 0x40014
	s_lshr_b32 s5, ttmp7, 16
	s_add_co_i32 s3, s3, 1
	s_bfe_u32 s6, ttmp6, 0x40008
	s_mul_i32 s3, s5, s3
	s_getreg_b32 s4, hwreg(HW_REG_IB_STS2, 6, 4)
	s_add_co_i32 s6, s6, s3
	s_cmp_eq_u32 s4, 0
	s_cselect_b32 s3, s5, s6
	s_wait_kmcnt 0x0
	s_cmp_ge_u32 s3, s2
	s_cbranch_scc1 .LBB115_9
; %bb.1:
	s_load_b32 s6, s[0:1], 0x20
	s_bfe_u32 s5, ttmp6, 0x4000c
	s_and_b32 s7, ttmp6, 15
	s_add_co_i32 s5, s5, 1
	v_mov_b32_e32 v3, 0
	s_mul_i32 s5, ttmp9, s5
	s_delay_alu instid0(SALU_CYCLE_1) | instskip(SKIP_4) | instid1(SALU_CYCLE_1)
	s_add_co_i32 s5, s7, s5
	s_wait_kmcnt 0x0
	s_ashr_i32 s7, s6, 31
	s_cmp_eq_u32 s4, 0
	s_cselect_b32 s4, ttmp9, s5
	v_lshl_or_b32 v2, s4, 8, v0
	s_delay_alu instid0(VALU_DEP_1)
	v_mul_u64_e32 v[0:1], s[6:7], v[2:3]
	s_clause 0x1
	s_load_b64 s[10:11], s[0:1], 0x0
	s_load_b128 s[4:7], s[0:1], 0x10
	s_wait_kmcnt 0x0
	s_lshl_b32 s8, s11, 16
	v_cmp_gt_u32_e32 vcc_lo, s10, v2
	s_cmp_neq_f32 s8, 1.0
	s_cselect_b32 s0, -1, 0
	s_delay_alu instid0(SALU_CYCLE_1)
	s_and_b32 s9, vcc_lo, s0
	s_lshl_b64 s[0:1], s[6:7], 1
	s_branch .LBB115_4
.LBB115_2:                              ;   in Loop: Header=BB115_4 Depth=1
	s_or_b32 exec_lo, exec_lo, s7
	flat_store_d16_hi_b16 v[2:3], v5
.LBB115_3:                              ;   in Loop: Header=BB115_4 Depth=1
	s_wait_xcnt 0x0
	s_or_b32 exec_lo, exec_lo, s6
	s_add_co_i32 s3, s3, 0x10000
	s_delay_alu instid0(SALU_CYCLE_1)
	s_cmp_lt_u32 s3, s2
	s_cbranch_scc0 .LBB115_9
.LBB115_4:                              ; =>This Inner Loop Header: Depth=1
	s_and_saveexec_b32 s6, s9
	s_cbranch_execz .LBB115_3
; %bb.5:                                ;   in Loop: Header=BB115_4 Depth=1
	s_load_b64 s[10:11], s[4:5], s3 offset:0x0 scale_offset
	s_wait_kmcnt 0x0
	s_add_nc_u64 s[10:11], s[10:11], s[0:1]
	s_delay_alu instid0(VALU_DEP_2) | instid1(SALU_CYCLE_1)
	v_lshl_add_u64 v[2:3], v[0:1], 1, s[10:11]
	flat_load_u16 v4, v[2:3]
	s_wait_loadcnt_dscnt 0x0
	v_lshlrev_b32_e32 v4, 16, v4
	s_delay_alu instid0(VALU_DEP_1) | instskip(NEXT) | instid1(VALU_DEP_1)
	v_mul_f32_e32 v4, s8, v4
	v_and_b32_e32 v5, 0x7f800000, v4
	s_delay_alu instid0(VALU_DEP_1) | instskip(SKIP_2) | instid1(SALU_CYCLE_1)
	v_cmp_ne_u32_e32 vcc_lo, 0x7f800000, v5
                                        ; implicit-def: $vgpr5
	s_wait_xcnt 0x0
	s_and_saveexec_b32 s7, vcc_lo
	s_xor_b32 s7, exec_lo, s7
; %bb.6:                                ;   in Loop: Header=BB115_4 Depth=1
	v_bfe_u32 v5, v4, 16, 1
	s_delay_alu instid0(VALU_DEP_1)
	v_add3_u32 v5, v4, v5, 0x7fff
                                        ; implicit-def: $vgpr4
; %bb.7:                                ;   in Loop: Header=BB115_4 Depth=1
	s_and_not1_saveexec_b32 s7, s7
	s_cbranch_execz .LBB115_2
; %bb.8:                                ;   in Loop: Header=BB115_4 Depth=1
	v_and_b32_e32 v5, 0xffff, v4
	v_or_b32_e32 v6, 0x10000, v4
	s_delay_alu instid0(VALU_DEP_2) | instskip(NEXT) | instid1(VALU_DEP_2)
	v_cmp_eq_u32_e32 vcc_lo, 0, v5
	v_cndmask_b32_e32 v5, v6, v4, vcc_lo
	s_branch .LBB115_2
.LBB115_9:
	s_endpgm
	.section	.rodata,"a",@progbits
	.p2align	6, 0x0
	.amdhsa_kernel _ZL19rocblas_scal_kernelIiLi256E16rocblas_bfloat16fS0_PKPS0_EviT3_lT4_lT_li
		.amdhsa_group_segment_fixed_size 0
		.amdhsa_private_segment_fixed_size 0
		.amdhsa_kernarg_size 52
		.amdhsa_user_sgpr_count 2
		.amdhsa_user_sgpr_dispatch_ptr 0
		.amdhsa_user_sgpr_queue_ptr 0
		.amdhsa_user_sgpr_kernarg_segment_ptr 1
		.amdhsa_user_sgpr_dispatch_id 0
		.amdhsa_user_sgpr_kernarg_preload_length 0
		.amdhsa_user_sgpr_kernarg_preload_offset 0
		.amdhsa_user_sgpr_private_segment_size 0
		.amdhsa_wavefront_size32 1
		.amdhsa_uses_dynamic_stack 0
		.amdhsa_enable_private_segment 0
		.amdhsa_system_sgpr_workgroup_id_x 1
		.amdhsa_system_sgpr_workgroup_id_y 0
		.amdhsa_system_sgpr_workgroup_id_z 1
		.amdhsa_system_sgpr_workgroup_info 0
		.amdhsa_system_vgpr_workitem_id 0
		.amdhsa_next_free_vgpr 7
		.amdhsa_next_free_sgpr 12
		.amdhsa_named_barrier_count 0
		.amdhsa_reserve_vcc 1
		.amdhsa_float_round_mode_32 0
		.amdhsa_float_round_mode_16_64 0
		.amdhsa_float_denorm_mode_32 3
		.amdhsa_float_denorm_mode_16_64 3
		.amdhsa_fp16_overflow 0
		.amdhsa_memory_ordered 1
		.amdhsa_forward_progress 1
		.amdhsa_inst_pref_size 4
		.amdhsa_round_robin_scheduling 0
		.amdhsa_exception_fp_ieee_invalid_op 0
		.amdhsa_exception_fp_denorm_src 0
		.amdhsa_exception_fp_ieee_div_zero 0
		.amdhsa_exception_fp_ieee_overflow 0
		.amdhsa_exception_fp_ieee_underflow 0
		.amdhsa_exception_fp_ieee_inexact 0
		.amdhsa_exception_int_div_zero 0
	.end_amdhsa_kernel
	.section	.text._ZL19rocblas_scal_kernelIiLi256E16rocblas_bfloat16fS0_PKPS0_EviT3_lT4_lT_li,"axG",@progbits,_ZL19rocblas_scal_kernelIiLi256E16rocblas_bfloat16fS0_PKPS0_EviT3_lT4_lT_li,comdat
.Lfunc_end115:
	.size	_ZL19rocblas_scal_kernelIiLi256E16rocblas_bfloat16fS0_PKPS0_EviT3_lT4_lT_li, .Lfunc_end115-_ZL19rocblas_scal_kernelIiLi256E16rocblas_bfloat16fS0_PKPS0_EviT3_lT4_lT_li
                                        ; -- End function
	.set _ZL19rocblas_scal_kernelIiLi256E16rocblas_bfloat16fS0_PKPS0_EviT3_lT4_lT_li.num_vgpr, 7
	.set _ZL19rocblas_scal_kernelIiLi256E16rocblas_bfloat16fS0_PKPS0_EviT3_lT4_lT_li.num_agpr, 0
	.set _ZL19rocblas_scal_kernelIiLi256E16rocblas_bfloat16fS0_PKPS0_EviT3_lT4_lT_li.numbered_sgpr, 12
	.set _ZL19rocblas_scal_kernelIiLi256E16rocblas_bfloat16fS0_PKPS0_EviT3_lT4_lT_li.num_named_barrier, 0
	.set _ZL19rocblas_scal_kernelIiLi256E16rocblas_bfloat16fS0_PKPS0_EviT3_lT4_lT_li.private_seg_size, 0
	.set _ZL19rocblas_scal_kernelIiLi256E16rocblas_bfloat16fS0_PKPS0_EviT3_lT4_lT_li.uses_vcc, 1
	.set _ZL19rocblas_scal_kernelIiLi256E16rocblas_bfloat16fS0_PKPS0_EviT3_lT4_lT_li.uses_flat_scratch, 0
	.set _ZL19rocblas_scal_kernelIiLi256E16rocblas_bfloat16fS0_PKPS0_EviT3_lT4_lT_li.has_dyn_sized_stack, 0
	.set _ZL19rocblas_scal_kernelIiLi256E16rocblas_bfloat16fS0_PKPS0_EviT3_lT4_lT_li.has_recursion, 0
	.set _ZL19rocblas_scal_kernelIiLi256E16rocblas_bfloat16fS0_PKPS0_EviT3_lT4_lT_li.has_indirect_call, 0
	.section	.AMDGPU.csdata,"",@progbits
; Kernel info:
; codeLenInByte = 400
; TotalNumSgprs: 14
; NumVgprs: 7
; ScratchSize: 0
; MemoryBound: 0
; FloatMode: 240
; IeeeMode: 1
; LDSByteSize: 0 bytes/workgroup (compile time only)
; SGPRBlocks: 0
; VGPRBlocks: 0
; NumSGPRsForWavesPerEU: 14
; NumVGPRsForWavesPerEU: 7
; NamedBarCnt: 0
; Occupancy: 16
; WaveLimiterHint : 1
; COMPUTE_PGM_RSRC2:SCRATCH_EN: 0
; COMPUTE_PGM_RSRC2:USER_SGPR: 2
; COMPUTE_PGM_RSRC2:TRAP_HANDLER: 0
; COMPUTE_PGM_RSRC2:TGID_X_EN: 1
; COMPUTE_PGM_RSRC2:TGID_Y_EN: 0
; COMPUTE_PGM_RSRC2:TGID_Z_EN: 1
; COMPUTE_PGM_RSRC2:TIDIG_COMP_CNT: 0
	.section	.text._ZL19rocblas_scal_kernelIlLi256E16rocblas_bfloat16fPKS0_PKPS0_EviT3_lT4_lT_li,"axG",@progbits,_ZL19rocblas_scal_kernelIlLi256E16rocblas_bfloat16fPKS0_PKPS0_EviT3_lT4_lT_li,comdat
	.globl	_ZL19rocblas_scal_kernelIlLi256E16rocblas_bfloat16fPKS0_PKPS0_EviT3_lT4_lT_li ; -- Begin function _ZL19rocblas_scal_kernelIlLi256E16rocblas_bfloat16fPKS0_PKPS0_EviT3_lT4_lT_li
	.p2align	8
	.type	_ZL19rocblas_scal_kernelIlLi256E16rocblas_bfloat16fPKS0_PKPS0_EviT3_lT4_lT_li,@function
_ZL19rocblas_scal_kernelIlLi256E16rocblas_bfloat16fPKS0_PKPS0_EviT3_lT4_lT_li: ; @_ZL19rocblas_scal_kernelIlLi256E16rocblas_bfloat16fPKS0_PKPS0_EviT3_lT4_lT_li
; %bb.0:
	s_load_b32 s12, s[0:1], 0x38
	s_bfe_u32 s2, ttmp6, 0x40014
	s_lshr_b32 s3, ttmp7, 16
	s_add_co_i32 s2, s2, 1
	s_bfe_u32 s5, ttmp6, 0x40008
	s_mul_i32 s2, s3, s2
	s_getreg_b32 s4, hwreg(HW_REG_IB_STS2, 6, 4)
	s_add_co_i32 s5, s5, s2
	s_cmp_eq_u32 s4, 0
	s_cselect_b32 s2, s3, s5
	s_mov_b32 s3, 0
	s_wait_kmcnt 0x0
	s_cmp_ge_u32 s2, s12
	s_cbranch_scc1 .LBB116_9
; %bb.1:
	s_load_b64 s[6:7], s[0:1], 0x28
	s_bfe_u32 s5, ttmp6, 0x4000c
	s_and_b32 s8, ttmp6, 15
	s_add_co_i32 s5, s5, 1
	v_mov_b32_e32 v1, 0
	s_mul_i32 s5, ttmp9, s5
	s_delay_alu instid0(SALU_CYCLE_1) | instskip(SKIP_2) | instid1(SALU_CYCLE_1)
	s_add_co_i32 s8, s8, s5
	s_cmp_eq_u32 s4, 0
	s_cselect_b32 s4, ttmp9, s8
	v_lshl_or_b32 v0, s4, 8, v0
	s_wait_kmcnt 0x0
	s_delay_alu instid0(VALU_DEP_1)
	v_mul_u64_e32 v[2:3], s[6:7], v[0:1]
	s_clause 0x1
	s_load_b32 s13, s[0:1], 0x0
	s_load_b256 s[4:11], s[0:1], 0x8
	s_wait_kmcnt 0x0
	v_cmp_gt_u32_e32 vcc_lo, s13, v0
	s_lshl_b64 s[10:11], s[10:11], 1
	s_branch .LBB116_4
.LBB116_2:                              ;   in Loop: Header=BB116_4 Depth=1
	s_or_b32 exec_lo, exec_lo, s13
	flat_store_d16_hi_b16 v[4:5], v6
.LBB116_3:                              ;   in Loop: Header=BB116_4 Depth=1
	s_wait_xcnt 0x0
	s_or_b32 exec_lo, exec_lo, s1
	s_add_co_i32 s2, s2, 0x10000
	s_delay_alu instid0(SALU_CYCLE_1)
	s_cmp_lt_u32 s2, s12
	s_cbranch_scc0 .LBB116_9
.LBB116_4:                              ; =>This Inner Loop Header: Depth=1
	s_mul_u64 s[0:1], s[6:7], s[2:3]
	s_delay_alu instid0(SALU_CYCLE_1) | instskip(NEXT) | instid1(SALU_CYCLE_1)
	s_lshl_b64 s[0:1], s[0:1], 1
	s_add_nc_u64 s[0:1], s[4:5], s[0:1]
	global_load_u16 v0, v1, s[0:1]
	s_wait_loadcnt 0x0
	s_wait_xcnt 0x0
	v_readfirstlane_b32 s0, v0
	s_lshl_b32 s0, s0, 16
	s_delay_alu instid0(SALU_CYCLE_1) | instskip(SKIP_1) | instid1(SALU_CYCLE_1)
	s_cmp_neq_f32 s0, 1.0
	s_cselect_b32 s1, -1, 0
	s_and_b32 s13, vcc_lo, s1
	s_delay_alu instid0(SALU_CYCLE_1)
	s_and_saveexec_b32 s1, s13
	s_cbranch_execz .LBB116_3
; %bb.5:                                ;   in Loop: Header=BB116_4 Depth=1
	s_lshl_b64 s[14:15], s[2:3], 3
	s_delay_alu instid0(SALU_CYCLE_1) | instskip(SKIP_4) | instid1(SALU_CYCLE_1)
	s_add_nc_u64 s[14:15], s[8:9], s[14:15]
	s_load_b64 s[14:15], s[14:15], 0x0
	s_wait_kmcnt 0x0
	s_wait_xcnt 0x0
	s_add_nc_u64 s[14:15], s[14:15], s[10:11]
	v_lshl_add_u64 v[4:5], v[2:3], 1, s[14:15]
	flat_load_u16 v0, v[4:5]
	s_wait_loadcnt_dscnt 0x0
	v_lshlrev_b32_e32 v0, 16, v0
	s_delay_alu instid0(VALU_DEP_1) | instskip(NEXT) | instid1(VALU_DEP_1)
	v_mul_f32_e32 v0, s0, v0
	v_and_b32_e32 v6, 0x7f800000, v0
	s_delay_alu instid0(VALU_DEP_1) | instskip(SKIP_2) | instid1(SALU_CYCLE_1)
	v_cmp_ne_u32_e64 s0, 0x7f800000, v6
                                        ; implicit-def: $vgpr6
	s_wait_xcnt 0x0
	s_and_saveexec_b32 s13, s0
	s_xor_b32 s0, exec_lo, s13
; %bb.6:                                ;   in Loop: Header=BB116_4 Depth=1
	v_bfe_u32 v6, v0, 16, 1
	s_delay_alu instid0(VALU_DEP_1)
	v_add3_u32 v6, v0, v6, 0x7fff
                                        ; implicit-def: $vgpr0
; %bb.7:                                ;   in Loop: Header=BB116_4 Depth=1
	s_and_not1_saveexec_b32 s13, s0
	s_cbranch_execz .LBB116_2
; %bb.8:                                ;   in Loop: Header=BB116_4 Depth=1
	v_and_b32_e32 v6, 0xffff, v0
	v_or_b32_e32 v7, 0x10000, v0
	s_delay_alu instid0(VALU_DEP_2) | instskip(NEXT) | instid1(VALU_DEP_1)
	v_cmp_eq_u32_e64 s0, 0, v6
	v_cndmask_b32_e64 v6, v7, v0, s0
	s_branch .LBB116_2
.LBB116_9:
	s_endpgm
	.section	.rodata,"a",@progbits
	.p2align	6, 0x0
	.amdhsa_kernel _ZL19rocblas_scal_kernelIlLi256E16rocblas_bfloat16fPKS0_PKPS0_EviT3_lT4_lT_li
		.amdhsa_group_segment_fixed_size 0
		.amdhsa_private_segment_fixed_size 0
		.amdhsa_kernarg_size 60
		.amdhsa_user_sgpr_count 2
		.amdhsa_user_sgpr_dispatch_ptr 0
		.amdhsa_user_sgpr_queue_ptr 0
		.amdhsa_user_sgpr_kernarg_segment_ptr 1
		.amdhsa_user_sgpr_dispatch_id 0
		.amdhsa_user_sgpr_kernarg_preload_length 0
		.amdhsa_user_sgpr_kernarg_preload_offset 0
		.amdhsa_user_sgpr_private_segment_size 0
		.amdhsa_wavefront_size32 1
		.amdhsa_uses_dynamic_stack 0
		.amdhsa_enable_private_segment 0
		.amdhsa_system_sgpr_workgroup_id_x 1
		.amdhsa_system_sgpr_workgroup_id_y 0
		.amdhsa_system_sgpr_workgroup_id_z 1
		.amdhsa_system_sgpr_workgroup_info 0
		.amdhsa_system_vgpr_workitem_id 0
		.amdhsa_next_free_vgpr 8
		.amdhsa_next_free_sgpr 16
		.amdhsa_named_barrier_count 0
		.amdhsa_reserve_vcc 1
		.amdhsa_float_round_mode_32 0
		.amdhsa_float_round_mode_16_64 0
		.amdhsa_float_denorm_mode_32 3
		.amdhsa_float_denorm_mode_16_64 3
		.amdhsa_fp16_overflow 0
		.amdhsa_memory_ordered 1
		.amdhsa_forward_progress 1
		.amdhsa_inst_pref_size 4
		.amdhsa_round_robin_scheduling 0
		.amdhsa_exception_fp_ieee_invalid_op 0
		.amdhsa_exception_fp_denorm_src 0
		.amdhsa_exception_fp_ieee_div_zero 0
		.amdhsa_exception_fp_ieee_overflow 0
		.amdhsa_exception_fp_ieee_underflow 0
		.amdhsa_exception_fp_ieee_inexact 0
		.amdhsa_exception_int_div_zero 0
	.end_amdhsa_kernel
	.section	.text._ZL19rocblas_scal_kernelIlLi256E16rocblas_bfloat16fPKS0_PKPS0_EviT3_lT4_lT_li,"axG",@progbits,_ZL19rocblas_scal_kernelIlLi256E16rocblas_bfloat16fPKS0_PKPS0_EviT3_lT4_lT_li,comdat
.Lfunc_end116:
	.size	_ZL19rocblas_scal_kernelIlLi256E16rocblas_bfloat16fPKS0_PKPS0_EviT3_lT4_lT_li, .Lfunc_end116-_ZL19rocblas_scal_kernelIlLi256E16rocblas_bfloat16fPKS0_PKPS0_EviT3_lT4_lT_li
                                        ; -- End function
	.set _ZL19rocblas_scal_kernelIlLi256E16rocblas_bfloat16fPKS0_PKPS0_EviT3_lT4_lT_li.num_vgpr, 8
	.set _ZL19rocblas_scal_kernelIlLi256E16rocblas_bfloat16fPKS0_PKPS0_EviT3_lT4_lT_li.num_agpr, 0
	.set _ZL19rocblas_scal_kernelIlLi256E16rocblas_bfloat16fPKS0_PKPS0_EviT3_lT4_lT_li.numbered_sgpr, 16
	.set _ZL19rocblas_scal_kernelIlLi256E16rocblas_bfloat16fPKS0_PKPS0_EviT3_lT4_lT_li.num_named_barrier, 0
	.set _ZL19rocblas_scal_kernelIlLi256E16rocblas_bfloat16fPKS0_PKPS0_EviT3_lT4_lT_li.private_seg_size, 0
	.set _ZL19rocblas_scal_kernelIlLi256E16rocblas_bfloat16fPKS0_PKPS0_EviT3_lT4_lT_li.uses_vcc, 1
	.set _ZL19rocblas_scal_kernelIlLi256E16rocblas_bfloat16fPKS0_PKPS0_EviT3_lT4_lT_li.uses_flat_scratch, 0
	.set _ZL19rocblas_scal_kernelIlLi256E16rocblas_bfloat16fPKS0_PKPS0_EviT3_lT4_lT_li.has_dyn_sized_stack, 0
	.set _ZL19rocblas_scal_kernelIlLi256E16rocblas_bfloat16fPKS0_PKPS0_EviT3_lT4_lT_li.has_recursion, 0
	.set _ZL19rocblas_scal_kernelIlLi256E16rocblas_bfloat16fPKS0_PKPS0_EviT3_lT4_lT_li.has_indirect_call, 0
	.section	.AMDGPU.csdata,"",@progbits
; Kernel info:
; codeLenInByte = 468
; TotalNumSgprs: 18
; NumVgprs: 8
; ScratchSize: 0
; MemoryBound: 0
; FloatMode: 240
; IeeeMode: 1
; LDSByteSize: 0 bytes/workgroup (compile time only)
; SGPRBlocks: 0
; VGPRBlocks: 0
; NumSGPRsForWavesPerEU: 18
; NumVGPRsForWavesPerEU: 8
; NamedBarCnt: 0
; Occupancy: 16
; WaveLimiterHint : 1
; COMPUTE_PGM_RSRC2:SCRATCH_EN: 0
; COMPUTE_PGM_RSRC2:USER_SGPR: 2
; COMPUTE_PGM_RSRC2:TRAP_HANDLER: 0
; COMPUTE_PGM_RSRC2:TGID_X_EN: 1
; COMPUTE_PGM_RSRC2:TGID_Y_EN: 0
; COMPUTE_PGM_RSRC2:TGID_Z_EN: 1
; COMPUTE_PGM_RSRC2:TIDIG_COMP_CNT: 0
	.section	.text._ZL19rocblas_scal_kernelIlLi256E16rocblas_bfloat16fS0_PKPS0_EviT3_lT4_lT_li,"axG",@progbits,_ZL19rocblas_scal_kernelIlLi256E16rocblas_bfloat16fS0_PKPS0_EviT3_lT4_lT_li,comdat
	.globl	_ZL19rocblas_scal_kernelIlLi256E16rocblas_bfloat16fS0_PKPS0_EviT3_lT4_lT_li ; -- Begin function _ZL19rocblas_scal_kernelIlLi256E16rocblas_bfloat16fS0_PKPS0_EviT3_lT4_lT_li
	.p2align	8
	.type	_ZL19rocblas_scal_kernelIlLi256E16rocblas_bfloat16fS0_PKPS0_EviT3_lT4_lT_li,@function
_ZL19rocblas_scal_kernelIlLi256E16rocblas_bfloat16fS0_PKPS0_EviT3_lT4_lT_li: ; @_ZL19rocblas_scal_kernelIlLi256E16rocblas_bfloat16fS0_PKPS0_EviT3_lT4_lT_li
; %bb.0:
	s_load_b32 s2, s[0:1], 0x30
	s_bfe_u32 s3, ttmp6, 0x40014
	s_lshr_b32 s5, ttmp7, 16
	s_add_co_i32 s3, s3, 1
	s_bfe_u32 s6, ttmp6, 0x40008
	s_mul_i32 s3, s5, s3
	s_getreg_b32 s4, hwreg(HW_REG_IB_STS2, 6, 4)
	s_add_co_i32 s6, s6, s3
	s_cmp_eq_u32 s4, 0
	s_cselect_b32 s3, s5, s6
	s_wait_kmcnt 0x0
	s_cmp_ge_u32 s3, s2
	s_cbranch_scc1 .LBB117_9
; %bb.1:
	s_load_b64 s[6:7], s[0:1], 0x20
	s_bfe_u32 s5, ttmp6, 0x4000c
	s_and_b32 s8, ttmp6, 15
	s_add_co_i32 s5, s5, 1
	v_mov_b32_e32 v3, 0
	s_mul_i32 s5, ttmp9, s5
	s_delay_alu instid0(SALU_CYCLE_1) | instskip(SKIP_2) | instid1(SALU_CYCLE_1)
	s_add_co_i32 s8, s8, s5
	s_cmp_eq_u32 s4, 0
	s_cselect_b32 s4, ttmp9, s8
	v_lshl_or_b32 v2, s4, 8, v0
	s_wait_kmcnt 0x0
	s_delay_alu instid0(VALU_DEP_1)
	v_mul_u64_e32 v[0:1], s[6:7], v[2:3]
	s_clause 0x1
	s_load_b64 s[10:11], s[0:1], 0x0
	s_load_b128 s[4:7], s[0:1], 0x10
	s_wait_kmcnt 0x0
	s_lshl_b32 s8, s11, 16
	v_cmp_gt_u32_e32 vcc_lo, s10, v2
	s_cmp_neq_f32 s8, 1.0
	s_cselect_b32 s0, -1, 0
	s_delay_alu instid0(SALU_CYCLE_1)
	s_and_b32 s9, vcc_lo, s0
	s_lshl_b64 s[0:1], s[6:7], 1
	s_branch .LBB117_4
.LBB117_2:                              ;   in Loop: Header=BB117_4 Depth=1
	s_or_b32 exec_lo, exec_lo, s7
	flat_store_d16_hi_b16 v[2:3], v5
.LBB117_3:                              ;   in Loop: Header=BB117_4 Depth=1
	s_wait_xcnt 0x0
	s_or_b32 exec_lo, exec_lo, s6
	s_add_co_i32 s3, s3, 0x10000
	s_delay_alu instid0(SALU_CYCLE_1)
	s_cmp_lt_u32 s3, s2
	s_cbranch_scc0 .LBB117_9
.LBB117_4:                              ; =>This Inner Loop Header: Depth=1
	s_and_saveexec_b32 s6, s9
	s_cbranch_execz .LBB117_3
; %bb.5:                                ;   in Loop: Header=BB117_4 Depth=1
	s_load_b64 s[10:11], s[4:5], s3 offset:0x0 scale_offset
	s_wait_kmcnt 0x0
	s_add_nc_u64 s[10:11], s[10:11], s[0:1]
	s_delay_alu instid0(VALU_DEP_2) | instid1(SALU_CYCLE_1)
	v_lshl_add_u64 v[2:3], v[0:1], 1, s[10:11]
	flat_load_u16 v4, v[2:3]
	s_wait_loadcnt_dscnt 0x0
	v_lshlrev_b32_e32 v4, 16, v4
	s_delay_alu instid0(VALU_DEP_1) | instskip(NEXT) | instid1(VALU_DEP_1)
	v_mul_f32_e32 v4, s8, v4
	v_and_b32_e32 v5, 0x7f800000, v4
	s_delay_alu instid0(VALU_DEP_1) | instskip(SKIP_2) | instid1(SALU_CYCLE_1)
	v_cmp_ne_u32_e32 vcc_lo, 0x7f800000, v5
                                        ; implicit-def: $vgpr5
	s_wait_xcnt 0x0
	s_and_saveexec_b32 s7, vcc_lo
	s_xor_b32 s7, exec_lo, s7
; %bb.6:                                ;   in Loop: Header=BB117_4 Depth=1
	v_bfe_u32 v5, v4, 16, 1
	s_delay_alu instid0(VALU_DEP_1)
	v_add3_u32 v5, v4, v5, 0x7fff
                                        ; implicit-def: $vgpr4
; %bb.7:                                ;   in Loop: Header=BB117_4 Depth=1
	s_and_not1_saveexec_b32 s7, s7
	s_cbranch_execz .LBB117_2
; %bb.8:                                ;   in Loop: Header=BB117_4 Depth=1
	v_and_b32_e32 v5, 0xffff, v4
	v_or_b32_e32 v6, 0x10000, v4
	s_delay_alu instid0(VALU_DEP_2) | instskip(NEXT) | instid1(VALU_DEP_2)
	v_cmp_eq_u32_e32 vcc_lo, 0, v5
	v_cndmask_b32_e32 v5, v6, v4, vcc_lo
	s_branch .LBB117_2
.LBB117_9:
	s_endpgm
	.section	.rodata,"a",@progbits
	.p2align	6, 0x0
	.amdhsa_kernel _ZL19rocblas_scal_kernelIlLi256E16rocblas_bfloat16fS0_PKPS0_EviT3_lT4_lT_li
		.amdhsa_group_segment_fixed_size 0
		.amdhsa_private_segment_fixed_size 0
		.amdhsa_kernarg_size 52
		.amdhsa_user_sgpr_count 2
		.amdhsa_user_sgpr_dispatch_ptr 0
		.amdhsa_user_sgpr_queue_ptr 0
		.amdhsa_user_sgpr_kernarg_segment_ptr 1
		.amdhsa_user_sgpr_dispatch_id 0
		.amdhsa_user_sgpr_kernarg_preload_length 0
		.amdhsa_user_sgpr_kernarg_preload_offset 0
		.amdhsa_user_sgpr_private_segment_size 0
		.amdhsa_wavefront_size32 1
		.amdhsa_uses_dynamic_stack 0
		.amdhsa_enable_private_segment 0
		.amdhsa_system_sgpr_workgroup_id_x 1
		.amdhsa_system_sgpr_workgroup_id_y 0
		.amdhsa_system_sgpr_workgroup_id_z 1
		.amdhsa_system_sgpr_workgroup_info 0
		.amdhsa_system_vgpr_workitem_id 0
		.amdhsa_next_free_vgpr 7
		.amdhsa_next_free_sgpr 12
		.amdhsa_named_barrier_count 0
		.amdhsa_reserve_vcc 1
		.amdhsa_float_round_mode_32 0
		.amdhsa_float_round_mode_16_64 0
		.amdhsa_float_denorm_mode_32 3
		.amdhsa_float_denorm_mode_16_64 3
		.amdhsa_fp16_overflow 0
		.amdhsa_memory_ordered 1
		.amdhsa_forward_progress 1
		.amdhsa_inst_pref_size 4
		.amdhsa_round_robin_scheduling 0
		.amdhsa_exception_fp_ieee_invalid_op 0
		.amdhsa_exception_fp_denorm_src 0
		.amdhsa_exception_fp_ieee_div_zero 0
		.amdhsa_exception_fp_ieee_overflow 0
		.amdhsa_exception_fp_ieee_underflow 0
		.amdhsa_exception_fp_ieee_inexact 0
		.amdhsa_exception_int_div_zero 0
	.end_amdhsa_kernel
	.section	.text._ZL19rocblas_scal_kernelIlLi256E16rocblas_bfloat16fS0_PKPS0_EviT3_lT4_lT_li,"axG",@progbits,_ZL19rocblas_scal_kernelIlLi256E16rocblas_bfloat16fS0_PKPS0_EviT3_lT4_lT_li,comdat
.Lfunc_end117:
	.size	_ZL19rocblas_scal_kernelIlLi256E16rocblas_bfloat16fS0_PKPS0_EviT3_lT4_lT_li, .Lfunc_end117-_ZL19rocblas_scal_kernelIlLi256E16rocblas_bfloat16fS0_PKPS0_EviT3_lT4_lT_li
                                        ; -- End function
	.set _ZL19rocblas_scal_kernelIlLi256E16rocblas_bfloat16fS0_PKPS0_EviT3_lT4_lT_li.num_vgpr, 7
	.set _ZL19rocblas_scal_kernelIlLi256E16rocblas_bfloat16fS0_PKPS0_EviT3_lT4_lT_li.num_agpr, 0
	.set _ZL19rocblas_scal_kernelIlLi256E16rocblas_bfloat16fS0_PKPS0_EviT3_lT4_lT_li.numbered_sgpr, 12
	.set _ZL19rocblas_scal_kernelIlLi256E16rocblas_bfloat16fS0_PKPS0_EviT3_lT4_lT_li.num_named_barrier, 0
	.set _ZL19rocblas_scal_kernelIlLi256E16rocblas_bfloat16fS0_PKPS0_EviT3_lT4_lT_li.private_seg_size, 0
	.set _ZL19rocblas_scal_kernelIlLi256E16rocblas_bfloat16fS0_PKPS0_EviT3_lT4_lT_li.uses_vcc, 1
	.set _ZL19rocblas_scal_kernelIlLi256E16rocblas_bfloat16fS0_PKPS0_EviT3_lT4_lT_li.uses_flat_scratch, 0
	.set _ZL19rocblas_scal_kernelIlLi256E16rocblas_bfloat16fS0_PKPS0_EviT3_lT4_lT_li.has_dyn_sized_stack, 0
	.set _ZL19rocblas_scal_kernelIlLi256E16rocblas_bfloat16fS0_PKPS0_EviT3_lT4_lT_li.has_recursion, 0
	.set _ZL19rocblas_scal_kernelIlLi256E16rocblas_bfloat16fS0_PKPS0_EviT3_lT4_lT_li.has_indirect_call, 0
	.section	.AMDGPU.csdata,"",@progbits
; Kernel info:
; codeLenInByte = 396
; TotalNumSgprs: 14
; NumVgprs: 7
; ScratchSize: 0
; MemoryBound: 0
; FloatMode: 240
; IeeeMode: 1
; LDSByteSize: 0 bytes/workgroup (compile time only)
; SGPRBlocks: 0
; VGPRBlocks: 0
; NumSGPRsForWavesPerEU: 14
; NumVGPRsForWavesPerEU: 7
; NamedBarCnt: 0
; Occupancy: 16
; WaveLimiterHint : 1
; COMPUTE_PGM_RSRC2:SCRATCH_EN: 0
; COMPUTE_PGM_RSRC2:USER_SGPR: 2
; COMPUTE_PGM_RSRC2:TRAP_HANDLER: 0
; COMPUTE_PGM_RSRC2:TGID_X_EN: 1
; COMPUTE_PGM_RSRC2:TGID_Y_EN: 0
; COMPUTE_PGM_RSRC2:TGID_Z_EN: 1
; COMPUTE_PGM_RSRC2:TIDIG_COMP_CNT: 0
	.section	.text._ZL22rocblas_sscal_2_kernelILi256E16rocblas_bfloat16fPKfPKPS0_EviT2_lT3_lli,"axG",@progbits,_ZL22rocblas_sscal_2_kernelILi256E16rocblas_bfloat16fPKfPKPS0_EviT2_lT3_lli,comdat
	.globl	_ZL22rocblas_sscal_2_kernelILi256E16rocblas_bfloat16fPKfPKPS0_EviT2_lT3_lli ; -- Begin function _ZL22rocblas_sscal_2_kernelILi256E16rocblas_bfloat16fPKfPKPS0_EviT2_lT3_lli
	.p2align	8
	.type	_ZL22rocblas_sscal_2_kernelILi256E16rocblas_bfloat16fPKfPKPS0_EviT2_lT3_lli,@function
_ZL22rocblas_sscal_2_kernelILi256E16rocblas_bfloat16fPKfPKPS0_EviT2_lT3_lli: ; @_ZL22rocblas_sscal_2_kernelILi256E16rocblas_bfloat16fPKfPKPS0_EviT2_lT3_lli
; %bb.0:
	s_load_b32 s12, s[0:1], 0x30
	s_bfe_u32 s2, ttmp6, 0x40014
	s_lshr_b32 s3, ttmp7, 16
	s_add_co_i32 s2, s2, 1
	s_bfe_u32 s4, ttmp6, 0x40008
	s_mul_i32 s2, s3, s2
	s_getreg_b32 s13, hwreg(HW_REG_IB_STS2, 6, 4)
	s_add_co_i32 s4, s4, s2
	s_cmp_eq_u32 s13, 0
	s_cselect_b32 s2, s3, s4
	s_mov_b32 s3, 0
	s_wait_kmcnt 0x0
	s_cmp_ge_u32 s2, s12
	s_cbranch_scc1 .LBB118_21
; %bb.1:
	s_load_b32 s14, s[0:1], 0x0
	s_bfe_u32 s15, ttmp6, 0x4000c
	s_load_b256 s[4:11], s[0:1], 0x8
	s_add_co_i32 s15, s15, 1
	s_wait_xcnt 0x0
	s_and_b32 s0, ttmp6, 15
	s_mul_i32 s1, ttmp9, s15
	v_dual_mov_b32 v1, 0 :: v_dual_lshlrev_b32 v0, 1, v0
	s_add_co_i32 s0, s0, s1
	s_cmp_eq_u32 s13, 0
	s_cselect_b32 s0, ttmp9, s0
	s_delay_alu instid0(VALU_DEP_1) | instid1(SALU_CYCLE_1)
	v_lshl_or_b32 v0, s0, 9, v0
	s_delay_alu instid0(VALU_DEP_1)
	v_or_b32_e32 v2, 1, v0
	s_wait_kmcnt 0x0
	s_bitcmp1_b32 s14, 0
	s_cselect_b32 s1, -1, 0
	s_add_co_i32 s0, s14, -1
	s_lshl_b64 s[10:11], s[10:11], 1
	v_cmp_eq_u32_e64 s0, s0, v0
	v_cmp_gt_u32_e32 vcc_lo, s14, v2
	s_and_b32 s1, s1, s0
	s_branch .LBB118_5
.LBB118_2:                              ;   in Loop: Header=BB118_5 Depth=1
	s_or_b32 exec_lo, exec_lo, s13
	flat_store_d16_hi_b16 v[2:3], v5
.LBB118_3:                              ;   in Loop: Header=BB118_5 Depth=1
	s_wait_xcnt 0x0
	s_or_b32 exec_lo, exec_lo, s14
.LBB118_4:                              ;   in Loop: Header=BB118_5 Depth=1
	s_add_co_i32 s2, s2, 0x10000
	s_delay_alu instid0(SALU_CYCLE_1)
	s_cmp_lt_u32 s2, s12
	s_cbranch_scc0 .LBB118_21
.LBB118_5:                              ; =>This Inner Loop Header: Depth=1
	s_wait_xcnt 0x0
	s_mul_u64 s[14:15], s[6:7], s[2:3]
	s_delay_alu instid0(SALU_CYCLE_1) | instskip(NEXT) | instid1(SALU_CYCLE_1)
	s_lshl_b64 s[14:15], s[14:15], 2
	s_add_nc_u64 s[14:15], s[4:5], s[14:15]
	s_load_b32 s13, s[14:15], 0x0
	s_wait_kmcnt 0x0
	s_cmp_eq_f32 s13, 1.0
	s_cbranch_scc1 .LBB118_4
; %bb.6:                                ;   in Loop: Header=BB118_5 Depth=1
	s_wait_xcnt 0x0
	s_lshl_b64 s[14:15], s[2:3], 3
	s_delay_alu instid0(SALU_CYCLE_1) | instskip(SKIP_4) | instid1(SALU_CYCLE_1)
	s_add_nc_u64 s[14:15], s[8:9], s[14:15]
	s_load_b64 s[14:15], s[14:15], 0x0
	s_wait_kmcnt 0x0
	s_wait_xcnt 0x0
	s_add_nc_u64 s[14:15], s[14:15], s[10:11]
	v_lshl_add_u64 v[2:3], v[0:1], 1, s[14:15]
	s_and_saveexec_b32 s14, vcc_lo
	s_cbranch_execz .LBB118_16
; %bb.7:                                ;   in Loop: Header=BB118_5 Depth=1
	flat_load_u16 v4, v[2:3]
	s_wait_loadcnt_dscnt 0x0
	v_lshlrev_b32_e32 v4, 16, v4
	s_delay_alu instid0(VALU_DEP_1) | instskip(NEXT) | instid1(VALU_DEP_1)
	v_mul_f32_e32 v5, s13, v4
	v_and_b32_e32 v4, 0x7f800000, v5
	s_delay_alu instid0(VALU_DEP_1) | instskip(SKIP_2) | instid1(SALU_CYCLE_1)
	v_cmp_ne_u32_e64 s0, 0x7f800000, v4
                                        ; implicit-def: $vgpr4
	s_wait_xcnt 0x0
	s_and_saveexec_b32 s15, s0
	s_xor_b32 s0, exec_lo, s15
; %bb.8:                                ;   in Loop: Header=BB118_5 Depth=1
	v_bfe_u32 v4, v5, 16, 1
	s_delay_alu instid0(VALU_DEP_1)
	v_add3_u32 v4, v5, v4, 0x7fff
                                        ; implicit-def: $vgpr5
; %bb.9:                                ;   in Loop: Header=BB118_5 Depth=1
	s_and_not1_saveexec_b32 s15, s0
; %bb.10:                               ;   in Loop: Header=BB118_5 Depth=1
	v_and_b32_e32 v4, 0xffff, v5
	v_or_b32_e32 v6, 0x10000, v5
	s_delay_alu instid0(VALU_DEP_2) | instskip(NEXT) | instid1(VALU_DEP_1)
	v_cmp_eq_u32_e64 s0, 0, v4
	v_cndmask_b32_e64 v4, v6, v5, s0
; %bb.11:                               ;   in Loop: Header=BB118_5 Depth=1
	s_or_b32 exec_lo, exec_lo, s15
	s_clause 0x1
	flat_load_u16 v5, v[2:3] offset:2
	flat_store_d16_hi_b16 v[2:3], v4
                                        ; implicit-def: $vgpr4
	s_wait_loadcnt_dscnt 0x1
	v_lshlrev_b32_e32 v5, 16, v5
	s_delay_alu instid0(VALU_DEP_1) | instskip(NEXT) | instid1(VALU_DEP_1)
	v_mul_f32_e32 v5, s13, v5
	v_and_b32_e32 v6, 0x7f800000, v5
	s_delay_alu instid0(VALU_DEP_1) | instskip(SKIP_2) | instid1(SALU_CYCLE_1)
	v_cmp_ne_u32_e64 s0, 0x7f800000, v6
	s_wait_xcnt 0x0
	s_and_saveexec_b32 s15, s0
	s_xor_b32 s0, exec_lo, s15
; %bb.12:                               ;   in Loop: Header=BB118_5 Depth=1
	v_bfe_u32 v4, v5, 16, 1
	s_delay_alu instid0(VALU_DEP_1)
	v_add3_u32 v4, v5, v4, 0x7fff
                                        ; implicit-def: $vgpr5
; %bb.13:                               ;   in Loop: Header=BB118_5 Depth=1
	s_and_not1_saveexec_b32 s15, s0
; %bb.14:                               ;   in Loop: Header=BB118_5 Depth=1
	v_and_b32_e32 v4, 0xffff, v5
	v_or_b32_e32 v6, 0x10000, v5
	s_delay_alu instid0(VALU_DEP_2) | instskip(NEXT) | instid1(VALU_DEP_1)
	v_cmp_eq_u32_e64 s0, 0, v4
	v_cndmask_b32_e64 v4, v6, v5, s0
; %bb.15:                               ;   in Loop: Header=BB118_5 Depth=1
	s_or_b32 exec_lo, exec_lo, s15
	flat_store_d16_hi_b16 v[2:3], v4 offset:2
.LBB118_16:                             ;   in Loop: Header=BB118_5 Depth=1
	s_wait_xcnt 0x0
	s_or_b32 exec_lo, exec_lo, s14
	s_and_saveexec_b32 s14, s1
	s_cbranch_execz .LBB118_3
; %bb.17:                               ;   in Loop: Header=BB118_5 Depth=1
	flat_load_u16 v4, v[2:3]
	s_wait_loadcnt_dscnt 0x0
	v_lshlrev_b32_e32 v4, 16, v4
	s_delay_alu instid0(VALU_DEP_1) | instskip(NEXT) | instid1(VALU_DEP_1)
	v_mul_f32_e32 v4, s13, v4
	v_and_b32_e32 v5, 0x7f800000, v4
	s_delay_alu instid0(VALU_DEP_1) | instskip(SKIP_2) | instid1(SALU_CYCLE_1)
	v_cmp_ne_u32_e64 s0, 0x7f800000, v5
                                        ; implicit-def: $vgpr5
	s_wait_xcnt 0x0
	s_and_saveexec_b32 s13, s0
	s_xor_b32 s0, exec_lo, s13
; %bb.18:                               ;   in Loop: Header=BB118_5 Depth=1
	v_bfe_u32 v5, v4, 16, 1
	s_delay_alu instid0(VALU_DEP_1)
	v_add3_u32 v5, v4, v5, 0x7fff
                                        ; implicit-def: $vgpr4
; %bb.19:                               ;   in Loop: Header=BB118_5 Depth=1
	s_and_not1_saveexec_b32 s13, s0
	s_cbranch_execz .LBB118_2
; %bb.20:                               ;   in Loop: Header=BB118_5 Depth=1
	v_and_b32_e32 v5, 0xffff, v4
	v_or_b32_e32 v6, 0x10000, v4
	s_delay_alu instid0(VALU_DEP_2) | instskip(NEXT) | instid1(VALU_DEP_1)
	v_cmp_eq_u32_e64 s0, 0, v5
	v_cndmask_b32_e64 v5, v6, v4, s0
	s_branch .LBB118_2
.LBB118_21:
	s_endpgm
	.section	.rodata,"a",@progbits
	.p2align	6, 0x0
	.amdhsa_kernel _ZL22rocblas_sscal_2_kernelILi256E16rocblas_bfloat16fPKfPKPS0_EviT2_lT3_lli
		.amdhsa_group_segment_fixed_size 0
		.amdhsa_private_segment_fixed_size 0
		.amdhsa_kernarg_size 52
		.amdhsa_user_sgpr_count 2
		.amdhsa_user_sgpr_dispatch_ptr 0
		.amdhsa_user_sgpr_queue_ptr 0
		.amdhsa_user_sgpr_kernarg_segment_ptr 1
		.amdhsa_user_sgpr_dispatch_id 0
		.amdhsa_user_sgpr_kernarg_preload_length 0
		.amdhsa_user_sgpr_kernarg_preload_offset 0
		.amdhsa_user_sgpr_private_segment_size 0
		.amdhsa_wavefront_size32 1
		.amdhsa_uses_dynamic_stack 0
		.amdhsa_enable_private_segment 0
		.amdhsa_system_sgpr_workgroup_id_x 1
		.amdhsa_system_sgpr_workgroup_id_y 0
		.amdhsa_system_sgpr_workgroup_id_z 1
		.amdhsa_system_sgpr_workgroup_info 0
		.amdhsa_system_vgpr_workitem_id 0
		.amdhsa_next_free_vgpr 7
		.amdhsa_next_free_sgpr 16
		.amdhsa_named_barrier_count 0
		.amdhsa_reserve_vcc 1
		.amdhsa_float_round_mode_32 0
		.amdhsa_float_round_mode_16_64 0
		.amdhsa_float_denorm_mode_32 3
		.amdhsa_float_denorm_mode_16_64 3
		.amdhsa_fp16_overflow 0
		.amdhsa_memory_ordered 1
		.amdhsa_forward_progress 1
		.amdhsa_inst_pref_size 7
		.amdhsa_round_robin_scheduling 0
		.amdhsa_exception_fp_ieee_invalid_op 0
		.amdhsa_exception_fp_denorm_src 0
		.amdhsa_exception_fp_ieee_div_zero 0
		.amdhsa_exception_fp_ieee_overflow 0
		.amdhsa_exception_fp_ieee_underflow 0
		.amdhsa_exception_fp_ieee_inexact 0
		.amdhsa_exception_int_div_zero 0
	.end_amdhsa_kernel
	.section	.text._ZL22rocblas_sscal_2_kernelILi256E16rocblas_bfloat16fPKfPKPS0_EviT2_lT3_lli,"axG",@progbits,_ZL22rocblas_sscal_2_kernelILi256E16rocblas_bfloat16fPKfPKPS0_EviT2_lT3_lli,comdat
.Lfunc_end118:
	.size	_ZL22rocblas_sscal_2_kernelILi256E16rocblas_bfloat16fPKfPKPS0_EviT2_lT3_lli, .Lfunc_end118-_ZL22rocblas_sscal_2_kernelILi256E16rocblas_bfloat16fPKfPKPS0_EviT2_lT3_lli
                                        ; -- End function
	.set _ZL22rocblas_sscal_2_kernelILi256E16rocblas_bfloat16fPKfPKPS0_EviT2_lT3_lli.num_vgpr, 7
	.set _ZL22rocblas_sscal_2_kernelILi256E16rocblas_bfloat16fPKfPKPS0_EviT2_lT3_lli.num_agpr, 0
	.set _ZL22rocblas_sscal_2_kernelILi256E16rocblas_bfloat16fPKfPKPS0_EviT2_lT3_lli.numbered_sgpr, 16
	.set _ZL22rocblas_sscal_2_kernelILi256E16rocblas_bfloat16fPKfPKPS0_EviT2_lT3_lli.num_named_barrier, 0
	.set _ZL22rocblas_sscal_2_kernelILi256E16rocblas_bfloat16fPKfPKPS0_EviT2_lT3_lli.private_seg_size, 0
	.set _ZL22rocblas_sscal_2_kernelILi256E16rocblas_bfloat16fPKfPKPS0_EviT2_lT3_lli.uses_vcc, 1
	.set _ZL22rocblas_sscal_2_kernelILi256E16rocblas_bfloat16fPKfPKPS0_EviT2_lT3_lli.uses_flat_scratch, 1
	.set _ZL22rocblas_sscal_2_kernelILi256E16rocblas_bfloat16fPKfPKPS0_EviT2_lT3_lli.has_dyn_sized_stack, 0
	.set _ZL22rocblas_sscal_2_kernelILi256E16rocblas_bfloat16fPKfPKPS0_EviT2_lT3_lli.has_recursion, 0
	.set _ZL22rocblas_sscal_2_kernelILi256E16rocblas_bfloat16fPKfPKPS0_EviT2_lT3_lli.has_indirect_call, 0
	.section	.AMDGPU.csdata,"",@progbits
; Kernel info:
; codeLenInByte = 772
; TotalNumSgprs: 18
; NumVgprs: 7
; ScratchSize: 0
; MemoryBound: 0
; FloatMode: 240
; IeeeMode: 1
; LDSByteSize: 0 bytes/workgroup (compile time only)
; SGPRBlocks: 0
; VGPRBlocks: 0
; NumSGPRsForWavesPerEU: 18
; NumVGPRsForWavesPerEU: 7
; NamedBarCnt: 0
; Occupancy: 16
; WaveLimiterHint : 1
; COMPUTE_PGM_RSRC2:SCRATCH_EN: 0
; COMPUTE_PGM_RSRC2:USER_SGPR: 2
; COMPUTE_PGM_RSRC2:TRAP_HANDLER: 0
; COMPUTE_PGM_RSRC2:TGID_X_EN: 1
; COMPUTE_PGM_RSRC2:TGID_Y_EN: 0
; COMPUTE_PGM_RSRC2:TGID_Z_EN: 1
; COMPUTE_PGM_RSRC2:TIDIG_COMP_CNT: 0
	.section	.text._ZL22rocblas_sscal_2_kernelILi256E16rocblas_bfloat16ffPKPS0_EviT2_lT3_lli,"axG",@progbits,_ZL22rocblas_sscal_2_kernelILi256E16rocblas_bfloat16ffPKPS0_EviT2_lT3_lli,comdat
	.globl	_ZL22rocblas_sscal_2_kernelILi256E16rocblas_bfloat16ffPKPS0_EviT2_lT3_lli ; -- Begin function _ZL22rocblas_sscal_2_kernelILi256E16rocblas_bfloat16ffPKPS0_EviT2_lT3_lli
	.p2align	8
	.type	_ZL22rocblas_sscal_2_kernelILi256E16rocblas_bfloat16ffPKPS0_EviT2_lT3_lli,@function
_ZL22rocblas_sscal_2_kernelILi256E16rocblas_bfloat16ffPKPS0_EviT2_lT3_lli: ; @_ZL22rocblas_sscal_2_kernelILi256E16rocblas_bfloat16ffPKPS0_EviT2_lT3_lli
; %bb.0:
	s_load_b32 s8, s[0:1], 0x28
	s_bfe_u32 s2, ttmp6, 0x40014
	s_lshr_b32 s3, ttmp7, 16
	s_add_co_i32 s2, s2, 1
	s_bfe_u32 s4, ttmp6, 0x40008
	s_mul_i32 s2, s3, s2
	s_getreg_b32 s10, hwreg(HW_REG_IB_STS2, 6, 4)
	s_add_co_i32 s4, s4, s2
	s_cmp_eq_u32 s10, 0
	s_cselect_b32 s9, s3, s4
	s_wait_kmcnt 0x0
	s_cmp_ge_u32 s9, s8
	s_cbranch_scc1 .LBB119_21
; %bb.1:
	s_clause 0x1
	s_load_b64 s[2:3], s[0:1], 0x0
	s_load_b128 s[4:7], s[0:1], 0x10
	s_bfe_u32 s11, ttmp6, 0x4000c
	s_wait_xcnt 0x0
	s_and_b32 s0, ttmp6, 15
	s_add_co_i32 s11, s11, 1
	v_dual_mov_b32 v1, 0 :: v_dual_lshlrev_b32 v0, 1, v0
	s_mul_i32 s1, ttmp9, s11
	s_delay_alu instid0(SALU_CYCLE_1) | instskip(SKIP_2) | instid1(SALU_CYCLE_1)
	s_add_co_i32 s0, s0, s1
	s_cmp_eq_u32 s10, 0
	s_cselect_b32 s0, ttmp9, s0
	v_lshl_or_b32 v0, s0, 9, v0
	s_delay_alu instid0(VALU_DEP_1)
	v_or_b32_e32 v2, 1, v0
	s_wait_kmcnt 0x0
	s_cmp_neq_f32 s3, 1.0
	s_cselect_b32 s1, -1, 0
	s_bitcmp1_b32 s2, 0
	s_cselect_b32 s10, -1, 0
	s_add_co_i32 s0, s2, -1
	s_lshl_b64 s[6:7], s[6:7], 1
	v_cmp_eq_u32_e32 vcc_lo, s0, v0
	v_cmp_gt_u32_e64 s0, s2, v2
	s_and_b32 s2, s10, vcc_lo
	s_branch .LBB119_5
.LBB119_2:                              ;   in Loop: Header=BB119_5 Depth=1
	s_or_b32 exec_lo, exec_lo, s11
	flat_store_d16_hi_b16 v[2:3], v5
.LBB119_3:                              ;   in Loop: Header=BB119_5 Depth=1
	s_wait_xcnt 0x0
	s_or_b32 exec_lo, exec_lo, s10
.LBB119_4:                              ;   in Loop: Header=BB119_5 Depth=1
	s_add_co_i32 s9, s9, 0x10000
	s_delay_alu instid0(SALU_CYCLE_1)
	s_cmp_lt_u32 s9, s8
	s_cbranch_scc0 .LBB119_21
.LBB119_5:                              ; =>This Inner Loop Header: Depth=1
	s_and_not1_b32 vcc_lo, exec_lo, s1
	s_cbranch_vccnz .LBB119_4
; %bb.6:                                ;   in Loop: Header=BB119_5 Depth=1
	s_load_b64 s[10:11], s[4:5], s9 offset:0x0 scale_offset
	s_wait_kmcnt 0x0
	s_add_nc_u64 s[10:11], s[10:11], s[6:7]
	s_delay_alu instid0(SALU_CYCLE_1)
	v_lshl_add_u64 v[2:3], v[0:1], 1, s[10:11]
	s_and_saveexec_b32 s10, s0
	s_cbranch_execz .LBB119_16
; %bb.7:                                ;   in Loop: Header=BB119_5 Depth=1
	flat_load_u16 v4, v[2:3]
	s_wait_loadcnt_dscnt 0x0
	v_lshlrev_b32_e32 v4, 16, v4
	s_delay_alu instid0(VALU_DEP_1) | instskip(NEXT) | instid1(VALU_DEP_1)
	v_mul_f32_e32 v5, s3, v4
	v_and_b32_e32 v4, 0x7f800000, v5
	s_delay_alu instid0(VALU_DEP_1) | instskip(SKIP_2) | instid1(SALU_CYCLE_1)
	v_cmp_ne_u32_e32 vcc_lo, 0x7f800000, v4
                                        ; implicit-def: $vgpr4
	s_wait_xcnt 0x0
	s_and_saveexec_b32 s11, vcc_lo
	s_xor_b32 s11, exec_lo, s11
; %bb.8:                                ;   in Loop: Header=BB119_5 Depth=1
	v_bfe_u32 v4, v5, 16, 1
	s_delay_alu instid0(VALU_DEP_1)
	v_add3_u32 v4, v5, v4, 0x7fff
                                        ; implicit-def: $vgpr5
; %bb.9:                                ;   in Loop: Header=BB119_5 Depth=1
	s_and_not1_saveexec_b32 s11, s11
; %bb.10:                               ;   in Loop: Header=BB119_5 Depth=1
	v_and_b32_e32 v4, 0xffff, v5
	v_or_b32_e32 v6, 0x10000, v5
	s_delay_alu instid0(VALU_DEP_2) | instskip(NEXT) | instid1(VALU_DEP_2)
	v_cmp_eq_u32_e32 vcc_lo, 0, v4
	v_cndmask_b32_e32 v4, v6, v5, vcc_lo
; %bb.11:                               ;   in Loop: Header=BB119_5 Depth=1
	s_or_b32 exec_lo, exec_lo, s11
	flat_load_u16 v5, v[2:3] offset:2
	s_mov_b32 s11, exec_lo
	flat_store_d16_hi_b16 v[2:3], v4
                                        ; implicit-def: $vgpr4
	s_wait_loadcnt_dscnt 0x1
	v_lshlrev_b32_e32 v5, 16, v5
	s_delay_alu instid0(VALU_DEP_1) | instskip(NEXT) | instid1(VALU_DEP_1)
	v_mul_f32_e32 v5, s3, v5
	v_and_b32_e32 v6, 0x7f800000, v5
	s_wait_xcnt 0x0
	s_delay_alu instid0(VALU_DEP_1)
	v_cmpx_ne_u32_e32 0x7f800000, v6
	s_xor_b32 s11, exec_lo, s11
; %bb.12:                               ;   in Loop: Header=BB119_5 Depth=1
	v_bfe_u32 v4, v5, 16, 1
	s_delay_alu instid0(VALU_DEP_1)
	v_add3_u32 v4, v5, v4, 0x7fff
                                        ; implicit-def: $vgpr5
; %bb.13:                               ;   in Loop: Header=BB119_5 Depth=1
	s_and_not1_saveexec_b32 s11, s11
; %bb.14:                               ;   in Loop: Header=BB119_5 Depth=1
	v_and_b32_e32 v4, 0xffff, v5
	v_or_b32_e32 v6, 0x10000, v5
	s_delay_alu instid0(VALU_DEP_2) | instskip(NEXT) | instid1(VALU_DEP_2)
	v_cmp_eq_u32_e32 vcc_lo, 0, v4
	v_cndmask_b32_e32 v4, v6, v5, vcc_lo
; %bb.15:                               ;   in Loop: Header=BB119_5 Depth=1
	s_or_b32 exec_lo, exec_lo, s11
	flat_store_d16_hi_b16 v[2:3], v4 offset:2
.LBB119_16:                             ;   in Loop: Header=BB119_5 Depth=1
	s_wait_xcnt 0x0
	s_or_b32 exec_lo, exec_lo, s10
	s_and_saveexec_b32 s10, s2
	s_cbranch_execz .LBB119_3
; %bb.17:                               ;   in Loop: Header=BB119_5 Depth=1
	flat_load_u16 v4, v[2:3]
	s_wait_loadcnt_dscnt 0x0
	v_lshlrev_b32_e32 v4, 16, v4
	s_delay_alu instid0(VALU_DEP_1) | instskip(NEXT) | instid1(VALU_DEP_1)
	v_mul_f32_e32 v4, s3, v4
	v_and_b32_e32 v5, 0x7f800000, v4
	s_delay_alu instid0(VALU_DEP_1) | instskip(SKIP_2) | instid1(SALU_CYCLE_1)
	v_cmp_ne_u32_e32 vcc_lo, 0x7f800000, v5
                                        ; implicit-def: $vgpr5
	s_wait_xcnt 0x0
	s_and_saveexec_b32 s11, vcc_lo
	s_xor_b32 s11, exec_lo, s11
; %bb.18:                               ;   in Loop: Header=BB119_5 Depth=1
	v_bfe_u32 v5, v4, 16, 1
	s_delay_alu instid0(VALU_DEP_1)
	v_add3_u32 v5, v4, v5, 0x7fff
                                        ; implicit-def: $vgpr4
; %bb.19:                               ;   in Loop: Header=BB119_5 Depth=1
	s_and_not1_saveexec_b32 s11, s11
	s_cbranch_execz .LBB119_2
; %bb.20:                               ;   in Loop: Header=BB119_5 Depth=1
	v_and_b32_e32 v5, 0xffff, v4
	v_or_b32_e32 v6, 0x10000, v4
	s_delay_alu instid0(VALU_DEP_2) | instskip(NEXT) | instid1(VALU_DEP_2)
	v_cmp_eq_u32_e32 vcc_lo, 0, v5
	v_cndmask_b32_e32 v5, v6, v4, vcc_lo
	s_branch .LBB119_2
.LBB119_21:
	s_endpgm
	.section	.rodata,"a",@progbits
	.p2align	6, 0x0
	.amdhsa_kernel _ZL22rocblas_sscal_2_kernelILi256E16rocblas_bfloat16ffPKPS0_EviT2_lT3_lli
		.amdhsa_group_segment_fixed_size 0
		.amdhsa_private_segment_fixed_size 0
		.amdhsa_kernarg_size 44
		.amdhsa_user_sgpr_count 2
		.amdhsa_user_sgpr_dispatch_ptr 0
		.amdhsa_user_sgpr_queue_ptr 0
		.amdhsa_user_sgpr_kernarg_segment_ptr 1
		.amdhsa_user_sgpr_dispatch_id 0
		.amdhsa_user_sgpr_kernarg_preload_length 0
		.amdhsa_user_sgpr_kernarg_preload_offset 0
		.amdhsa_user_sgpr_private_segment_size 0
		.amdhsa_wavefront_size32 1
		.amdhsa_uses_dynamic_stack 0
		.amdhsa_enable_private_segment 0
		.amdhsa_system_sgpr_workgroup_id_x 1
		.amdhsa_system_sgpr_workgroup_id_y 0
		.amdhsa_system_sgpr_workgroup_id_z 1
		.amdhsa_system_sgpr_workgroup_info 0
		.amdhsa_system_vgpr_workitem_id 0
		.amdhsa_next_free_vgpr 7
		.amdhsa_next_free_sgpr 12
		.amdhsa_named_barrier_count 0
		.amdhsa_reserve_vcc 1
		.amdhsa_float_round_mode_32 0
		.amdhsa_float_round_mode_16_64 0
		.amdhsa_float_denorm_mode_32 3
		.amdhsa_float_denorm_mode_16_64 3
		.amdhsa_fp16_overflow 0
		.amdhsa_memory_ordered 1
		.amdhsa_forward_progress 1
		.amdhsa_inst_pref_size 6
		.amdhsa_round_robin_scheduling 0
		.amdhsa_exception_fp_ieee_invalid_op 0
		.amdhsa_exception_fp_denorm_src 0
		.amdhsa_exception_fp_ieee_div_zero 0
		.amdhsa_exception_fp_ieee_overflow 0
		.amdhsa_exception_fp_ieee_underflow 0
		.amdhsa_exception_fp_ieee_inexact 0
		.amdhsa_exception_int_div_zero 0
	.end_amdhsa_kernel
	.section	.text._ZL22rocblas_sscal_2_kernelILi256E16rocblas_bfloat16ffPKPS0_EviT2_lT3_lli,"axG",@progbits,_ZL22rocblas_sscal_2_kernelILi256E16rocblas_bfloat16ffPKPS0_EviT2_lT3_lli,comdat
.Lfunc_end119:
	.size	_ZL22rocblas_sscal_2_kernelILi256E16rocblas_bfloat16ffPKPS0_EviT2_lT3_lli, .Lfunc_end119-_ZL22rocblas_sscal_2_kernelILi256E16rocblas_bfloat16ffPKPS0_EviT2_lT3_lli
                                        ; -- End function
	.set _ZL22rocblas_sscal_2_kernelILi256E16rocblas_bfloat16ffPKPS0_EviT2_lT3_lli.num_vgpr, 7
	.set _ZL22rocblas_sscal_2_kernelILi256E16rocblas_bfloat16ffPKPS0_EviT2_lT3_lli.num_agpr, 0
	.set _ZL22rocblas_sscal_2_kernelILi256E16rocblas_bfloat16ffPKPS0_EviT2_lT3_lli.numbered_sgpr, 12
	.set _ZL22rocblas_sscal_2_kernelILi256E16rocblas_bfloat16ffPKPS0_EviT2_lT3_lli.num_named_barrier, 0
	.set _ZL22rocblas_sscal_2_kernelILi256E16rocblas_bfloat16ffPKPS0_EviT2_lT3_lli.private_seg_size, 0
	.set _ZL22rocblas_sscal_2_kernelILi256E16rocblas_bfloat16ffPKPS0_EviT2_lT3_lli.uses_vcc, 1
	.set _ZL22rocblas_sscal_2_kernelILi256E16rocblas_bfloat16ffPKPS0_EviT2_lT3_lli.uses_flat_scratch, 0
	.set _ZL22rocblas_sscal_2_kernelILi256E16rocblas_bfloat16ffPKPS0_EviT2_lT3_lli.has_dyn_sized_stack, 0
	.set _ZL22rocblas_sscal_2_kernelILi256E16rocblas_bfloat16ffPKPS0_EviT2_lT3_lli.has_recursion, 0
	.set _ZL22rocblas_sscal_2_kernelILi256E16rocblas_bfloat16ffPKPS0_EviT2_lT3_lli.has_indirect_call, 0
	.section	.AMDGPU.csdata,"",@progbits
; Kernel info:
; codeLenInByte = 692
; TotalNumSgprs: 14
; NumVgprs: 7
; ScratchSize: 0
; MemoryBound: 0
; FloatMode: 240
; IeeeMode: 1
; LDSByteSize: 0 bytes/workgroup (compile time only)
; SGPRBlocks: 0
; VGPRBlocks: 0
; NumSGPRsForWavesPerEU: 14
; NumVGPRsForWavesPerEU: 7
; NamedBarCnt: 0
; Occupancy: 16
; WaveLimiterHint : 1
; COMPUTE_PGM_RSRC2:SCRATCH_EN: 0
; COMPUTE_PGM_RSRC2:USER_SGPR: 2
; COMPUTE_PGM_RSRC2:TRAP_HANDLER: 0
; COMPUTE_PGM_RSRC2:TGID_X_EN: 1
; COMPUTE_PGM_RSRC2:TGID_Y_EN: 0
; COMPUTE_PGM_RSRC2:TGID_Z_EN: 1
; COMPUTE_PGM_RSRC2:TIDIG_COMP_CNT: 0
	.section	.text._ZL19rocblas_scal_kernelIiLi256E16rocblas_bfloat16fPKfPKPS0_EviT3_lT4_lT_li,"axG",@progbits,_ZL19rocblas_scal_kernelIiLi256E16rocblas_bfloat16fPKfPKPS0_EviT3_lT4_lT_li,comdat
	.globl	_ZL19rocblas_scal_kernelIiLi256E16rocblas_bfloat16fPKfPKPS0_EviT3_lT4_lT_li ; -- Begin function _ZL19rocblas_scal_kernelIiLi256E16rocblas_bfloat16fPKfPKPS0_EviT3_lT4_lT_li
	.p2align	8
	.type	_ZL19rocblas_scal_kernelIiLi256E16rocblas_bfloat16fPKfPKPS0_EviT3_lT4_lT_li,@function
_ZL19rocblas_scal_kernelIiLi256E16rocblas_bfloat16fPKfPKPS0_EviT3_lT4_lT_li: ; @_ZL19rocblas_scal_kernelIiLi256E16rocblas_bfloat16fPKfPKPS0_EviT3_lT4_lT_li
; %bb.0:
	s_load_b32 s12, s[0:1], 0x38
	s_bfe_u32 s2, ttmp6, 0x40014
	s_lshr_b32 s3, ttmp7, 16
	s_add_co_i32 s2, s2, 1
	s_bfe_u32 s5, ttmp6, 0x40008
	s_mul_i32 s2, s3, s2
	s_getreg_b32 s4, hwreg(HW_REG_IB_STS2, 6, 4)
	s_add_co_i32 s5, s5, s2
	s_cmp_eq_u32 s4, 0
	s_cselect_b32 s2, s3, s5
	s_mov_b32 s3, 0
	s_wait_kmcnt 0x0
	s_cmp_ge_u32 s2, s12
	s_cbranch_scc1 .LBB120_9
; %bb.1:
	s_load_b32 s6, s[0:1], 0x28
	s_bfe_u32 s5, ttmp6, 0x4000c
	s_and_b32 s7, ttmp6, 15
	s_add_co_i32 s5, s5, 1
	v_mov_b32_e32 v3, 0
	s_mul_i32 s5, ttmp9, s5
	s_delay_alu instid0(SALU_CYCLE_1) | instskip(SKIP_4) | instid1(SALU_CYCLE_1)
	s_add_co_i32 s5, s7, s5
	s_wait_kmcnt 0x0
	s_ashr_i32 s7, s6, 31
	s_cmp_eq_u32 s4, 0
	s_cselect_b32 s4, ttmp9, s5
	v_lshl_or_b32 v2, s4, 8, v0
	s_delay_alu instid0(VALU_DEP_1)
	v_mul_u64_e32 v[0:1], s[6:7], v[2:3]
	s_clause 0x1
	s_load_b32 s13, s[0:1], 0x0
	s_load_b256 s[4:11], s[0:1], 0x8
	s_wait_kmcnt 0x0
	v_cmp_gt_u32_e32 vcc_lo, s13, v2
	s_lshl_b64 s[10:11], s[10:11], 1
	s_branch .LBB120_4
.LBB120_2:                              ;   in Loop: Header=BB120_4 Depth=1
	s_or_b32 exec_lo, exec_lo, s13
	flat_store_d16_hi_b16 v[2:3], v5
.LBB120_3:                              ;   in Loop: Header=BB120_4 Depth=1
	s_wait_xcnt 0x0
	s_or_b32 exec_lo, exec_lo, s1
	s_add_co_i32 s2, s2, 0x10000
	s_delay_alu instid0(SALU_CYCLE_1)
	s_cmp_lt_u32 s2, s12
	s_cbranch_scc0 .LBB120_9
.LBB120_4:                              ; =>This Inner Loop Header: Depth=1
	s_mul_u64 s[0:1], s[6:7], s[2:3]
	s_delay_alu instid0(SALU_CYCLE_1) | instskip(NEXT) | instid1(SALU_CYCLE_1)
	s_lshl_b64 s[0:1], s[0:1], 2
	s_add_nc_u64 s[0:1], s[4:5], s[0:1]
	s_load_b32 s0, s[0:1], 0x0
	s_wait_kmcnt 0x0
	s_cmp_neq_f32 s0, 1.0
	s_wait_xcnt 0x0
	s_cselect_b32 s1, -1, 0
	s_delay_alu instid0(SALU_CYCLE_1) | instskip(NEXT) | instid1(SALU_CYCLE_1)
	s_and_b32 s13, vcc_lo, s1
	s_and_saveexec_b32 s1, s13
	s_cbranch_execz .LBB120_3
; %bb.5:                                ;   in Loop: Header=BB120_4 Depth=1
	s_lshl_b64 s[14:15], s[2:3], 3
	s_delay_alu instid0(SALU_CYCLE_1)
	s_add_nc_u64 s[14:15], s[8:9], s[14:15]
	s_load_b64 s[14:15], s[14:15], 0x0
	s_wait_kmcnt 0x0
	s_wait_xcnt 0x0
	s_add_nc_u64 s[14:15], s[14:15], s[10:11]
	s_delay_alu instid0(VALU_DEP_2) | instid1(SALU_CYCLE_1)
	v_lshl_add_u64 v[2:3], v[0:1], 1, s[14:15]
	flat_load_u16 v4, v[2:3]
	s_wait_loadcnt_dscnt 0x0
	v_lshlrev_b32_e32 v4, 16, v4
	s_delay_alu instid0(VALU_DEP_1) | instskip(NEXT) | instid1(VALU_DEP_1)
	v_mul_f32_e32 v4, s0, v4
	v_and_b32_e32 v5, 0x7f800000, v4
	s_delay_alu instid0(VALU_DEP_1) | instskip(SKIP_2) | instid1(SALU_CYCLE_1)
	v_cmp_ne_u32_e64 s0, 0x7f800000, v5
                                        ; implicit-def: $vgpr5
	s_wait_xcnt 0x0
	s_and_saveexec_b32 s13, s0
	s_xor_b32 s0, exec_lo, s13
; %bb.6:                                ;   in Loop: Header=BB120_4 Depth=1
	v_bfe_u32 v5, v4, 16, 1
	s_delay_alu instid0(VALU_DEP_1)
	v_add3_u32 v5, v4, v5, 0x7fff
                                        ; implicit-def: $vgpr4
; %bb.7:                                ;   in Loop: Header=BB120_4 Depth=1
	s_and_not1_saveexec_b32 s13, s0
	s_cbranch_execz .LBB120_2
; %bb.8:                                ;   in Loop: Header=BB120_4 Depth=1
	v_and_b32_e32 v5, 0xffff, v4
	v_or_b32_e32 v6, 0x10000, v4
	s_delay_alu instid0(VALU_DEP_2) | instskip(NEXT) | instid1(VALU_DEP_1)
	v_cmp_eq_u32_e64 s0, 0, v5
	v_cndmask_b32_e64 v5, v6, v4, s0
	s_branch .LBB120_2
.LBB120_9:
	s_endpgm
	.section	.rodata,"a",@progbits
	.p2align	6, 0x0
	.amdhsa_kernel _ZL19rocblas_scal_kernelIiLi256E16rocblas_bfloat16fPKfPKPS0_EviT3_lT4_lT_li
		.amdhsa_group_segment_fixed_size 0
		.amdhsa_private_segment_fixed_size 0
		.amdhsa_kernarg_size 60
		.amdhsa_user_sgpr_count 2
		.amdhsa_user_sgpr_dispatch_ptr 0
		.amdhsa_user_sgpr_queue_ptr 0
		.amdhsa_user_sgpr_kernarg_segment_ptr 1
		.amdhsa_user_sgpr_dispatch_id 0
		.amdhsa_user_sgpr_kernarg_preload_length 0
		.amdhsa_user_sgpr_kernarg_preload_offset 0
		.amdhsa_user_sgpr_private_segment_size 0
		.amdhsa_wavefront_size32 1
		.amdhsa_uses_dynamic_stack 0
		.amdhsa_enable_private_segment 0
		.amdhsa_system_sgpr_workgroup_id_x 1
		.amdhsa_system_sgpr_workgroup_id_y 0
		.amdhsa_system_sgpr_workgroup_id_z 1
		.amdhsa_system_sgpr_workgroup_info 0
		.amdhsa_system_vgpr_workitem_id 0
		.amdhsa_next_free_vgpr 7
		.amdhsa_next_free_sgpr 16
		.amdhsa_named_barrier_count 0
		.amdhsa_reserve_vcc 1
		.amdhsa_float_round_mode_32 0
		.amdhsa_float_round_mode_16_64 0
		.amdhsa_float_denorm_mode_32 3
		.amdhsa_float_denorm_mode_16_64 3
		.amdhsa_fp16_overflow 0
		.amdhsa_memory_ordered 1
		.amdhsa_forward_progress 1
		.amdhsa_inst_pref_size 4
		.amdhsa_round_robin_scheduling 0
		.amdhsa_exception_fp_ieee_invalid_op 0
		.amdhsa_exception_fp_denorm_src 0
		.amdhsa_exception_fp_ieee_div_zero 0
		.amdhsa_exception_fp_ieee_overflow 0
		.amdhsa_exception_fp_ieee_underflow 0
		.amdhsa_exception_fp_ieee_inexact 0
		.amdhsa_exception_int_div_zero 0
	.end_amdhsa_kernel
	.section	.text._ZL19rocblas_scal_kernelIiLi256E16rocblas_bfloat16fPKfPKPS0_EviT3_lT4_lT_li,"axG",@progbits,_ZL19rocblas_scal_kernelIiLi256E16rocblas_bfloat16fPKfPKPS0_EviT3_lT4_lT_li,comdat
.Lfunc_end120:
	.size	_ZL19rocblas_scal_kernelIiLi256E16rocblas_bfloat16fPKfPKPS0_EviT3_lT4_lT_li, .Lfunc_end120-_ZL19rocblas_scal_kernelIiLi256E16rocblas_bfloat16fPKfPKPS0_EviT3_lT4_lT_li
                                        ; -- End function
	.set _ZL19rocblas_scal_kernelIiLi256E16rocblas_bfloat16fPKfPKPS0_EviT3_lT4_lT_li.num_vgpr, 7
	.set _ZL19rocblas_scal_kernelIiLi256E16rocblas_bfloat16fPKfPKPS0_EviT3_lT4_lT_li.num_agpr, 0
	.set _ZL19rocblas_scal_kernelIiLi256E16rocblas_bfloat16fPKfPKPS0_EviT3_lT4_lT_li.numbered_sgpr, 16
	.set _ZL19rocblas_scal_kernelIiLi256E16rocblas_bfloat16fPKfPKPS0_EviT3_lT4_lT_li.num_named_barrier, 0
	.set _ZL19rocblas_scal_kernelIiLi256E16rocblas_bfloat16fPKfPKPS0_EviT3_lT4_lT_li.private_seg_size, 0
	.set _ZL19rocblas_scal_kernelIiLi256E16rocblas_bfloat16fPKfPKPS0_EviT3_lT4_lT_li.uses_vcc, 1
	.set _ZL19rocblas_scal_kernelIiLi256E16rocblas_bfloat16fPKfPKPS0_EviT3_lT4_lT_li.uses_flat_scratch, 0
	.set _ZL19rocblas_scal_kernelIiLi256E16rocblas_bfloat16fPKfPKPS0_EviT3_lT4_lT_li.has_dyn_sized_stack, 0
	.set _ZL19rocblas_scal_kernelIiLi256E16rocblas_bfloat16fPKfPKPS0_EviT3_lT4_lT_li.has_recursion, 0
	.set _ZL19rocblas_scal_kernelIiLi256E16rocblas_bfloat16fPKfPKPS0_EviT3_lT4_lT_li.has_indirect_call, 0
	.section	.AMDGPU.csdata,"",@progbits
; Kernel info:
; codeLenInByte = 460
; TotalNumSgprs: 18
; NumVgprs: 7
; ScratchSize: 0
; MemoryBound: 0
; FloatMode: 240
; IeeeMode: 1
; LDSByteSize: 0 bytes/workgroup (compile time only)
; SGPRBlocks: 0
; VGPRBlocks: 0
; NumSGPRsForWavesPerEU: 18
; NumVGPRsForWavesPerEU: 7
; NamedBarCnt: 0
; Occupancy: 16
; WaveLimiterHint : 1
; COMPUTE_PGM_RSRC2:SCRATCH_EN: 0
; COMPUTE_PGM_RSRC2:USER_SGPR: 2
; COMPUTE_PGM_RSRC2:TRAP_HANDLER: 0
; COMPUTE_PGM_RSRC2:TGID_X_EN: 1
; COMPUTE_PGM_RSRC2:TGID_Y_EN: 0
; COMPUTE_PGM_RSRC2:TGID_Z_EN: 1
; COMPUTE_PGM_RSRC2:TIDIG_COMP_CNT: 0
	.section	.text._ZL19rocblas_scal_kernelIiLi256E16rocblas_bfloat16ffPKPS0_EviT3_lT4_lT_li,"axG",@progbits,_ZL19rocblas_scal_kernelIiLi256E16rocblas_bfloat16ffPKPS0_EviT3_lT4_lT_li,comdat
	.globl	_ZL19rocblas_scal_kernelIiLi256E16rocblas_bfloat16ffPKPS0_EviT3_lT4_lT_li ; -- Begin function _ZL19rocblas_scal_kernelIiLi256E16rocblas_bfloat16ffPKPS0_EviT3_lT4_lT_li
	.p2align	8
	.type	_ZL19rocblas_scal_kernelIiLi256E16rocblas_bfloat16ffPKPS0_EviT3_lT4_lT_li,@function
_ZL19rocblas_scal_kernelIiLi256E16rocblas_bfloat16ffPKPS0_EviT3_lT4_lT_li: ; @_ZL19rocblas_scal_kernelIiLi256E16rocblas_bfloat16ffPKPS0_EviT3_lT4_lT_li
; %bb.0:
	s_load_b32 s8, s[0:1], 0x30
	s_bfe_u32 s2, ttmp6, 0x40014
	s_lshr_b32 s3, ttmp7, 16
	s_add_co_i32 s2, s2, 1
	s_bfe_u32 s5, ttmp6, 0x40008
	s_mul_i32 s4, s3, s2
	s_getreg_b32 s2, hwreg(HW_REG_IB_STS2, 6, 4)
	s_add_co_i32 s5, s5, s4
	s_cmp_eq_u32 s2, 0
	s_cselect_b32 s9, s3, s5
	s_wait_kmcnt 0x0
	s_cmp_ge_u32 s9, s8
	s_cbranch_scc1 .LBB121_9
; %bb.1:
	s_load_b32 s4, s[0:1], 0x20
	s_bfe_u32 s3, ttmp6, 0x4000c
	s_and_b32 s5, ttmp6, 15
	s_add_co_i32 s3, s3, 1
	v_mov_b32_e32 v3, 0
	s_mul_i32 s3, ttmp9, s3
	s_delay_alu instid0(SALU_CYCLE_1) | instskip(SKIP_4) | instid1(SALU_CYCLE_1)
	s_add_co_i32 s3, s5, s3
	s_wait_kmcnt 0x0
	s_ashr_i32 s5, s4, 31
	s_cmp_eq_u32 s2, 0
	s_cselect_b32 s2, ttmp9, s3
	v_lshl_or_b32 v2, s2, 8, v0
	s_delay_alu instid0(VALU_DEP_1)
	v_mul_u64_e32 v[0:1], s[4:5], v[2:3]
	s_clause 0x1
	s_load_b64 s[2:3], s[0:1], 0x0
	s_load_b128 s[4:7], s[0:1], 0x10
	s_wait_kmcnt 0x0
	s_cmp_neq_f32 s3, 1.0
	v_cmp_gt_u32_e32 vcc_lo, s2, v2
	s_cselect_b32 s0, -1, 0
	s_delay_alu instid0(SALU_CYCLE_1)
	s_and_b32 s2, vcc_lo, s0
	s_lshl_b64 s[0:1], s[6:7], 1
	s_branch .LBB121_4
.LBB121_2:                              ;   in Loop: Header=BB121_4 Depth=1
	s_or_b32 exec_lo, exec_lo, s7
	flat_store_d16_hi_b16 v[2:3], v5
.LBB121_3:                              ;   in Loop: Header=BB121_4 Depth=1
	s_wait_xcnt 0x0
	s_or_b32 exec_lo, exec_lo, s6
	s_add_co_i32 s9, s9, 0x10000
	s_delay_alu instid0(SALU_CYCLE_1)
	s_cmp_lt_u32 s9, s8
	s_cbranch_scc0 .LBB121_9
.LBB121_4:                              ; =>This Inner Loop Header: Depth=1
	s_and_saveexec_b32 s6, s2
	s_cbranch_execz .LBB121_3
; %bb.5:                                ;   in Loop: Header=BB121_4 Depth=1
	s_load_b64 s[10:11], s[4:5], s9 offset:0x0 scale_offset
	s_wait_kmcnt 0x0
	s_add_nc_u64 s[10:11], s[10:11], s[0:1]
	s_delay_alu instid0(VALU_DEP_2) | instid1(SALU_CYCLE_1)
	v_lshl_add_u64 v[2:3], v[0:1], 1, s[10:11]
	flat_load_u16 v4, v[2:3]
	s_wait_loadcnt_dscnt 0x0
	v_lshlrev_b32_e32 v4, 16, v4
	s_delay_alu instid0(VALU_DEP_1) | instskip(NEXT) | instid1(VALU_DEP_1)
	v_mul_f32_e32 v4, s3, v4
	v_and_b32_e32 v5, 0x7f800000, v4
	s_delay_alu instid0(VALU_DEP_1) | instskip(SKIP_2) | instid1(SALU_CYCLE_1)
	v_cmp_ne_u32_e32 vcc_lo, 0x7f800000, v5
                                        ; implicit-def: $vgpr5
	s_wait_xcnt 0x0
	s_and_saveexec_b32 s7, vcc_lo
	s_xor_b32 s7, exec_lo, s7
; %bb.6:                                ;   in Loop: Header=BB121_4 Depth=1
	v_bfe_u32 v5, v4, 16, 1
	s_delay_alu instid0(VALU_DEP_1)
	v_add3_u32 v5, v4, v5, 0x7fff
                                        ; implicit-def: $vgpr4
; %bb.7:                                ;   in Loop: Header=BB121_4 Depth=1
	s_and_not1_saveexec_b32 s7, s7
	s_cbranch_execz .LBB121_2
; %bb.8:                                ;   in Loop: Header=BB121_4 Depth=1
	v_and_b32_e32 v5, 0xffff, v4
	v_or_b32_e32 v6, 0x10000, v4
	s_delay_alu instid0(VALU_DEP_2) | instskip(NEXT) | instid1(VALU_DEP_2)
	v_cmp_eq_u32_e32 vcc_lo, 0, v5
	v_cndmask_b32_e32 v5, v6, v4, vcc_lo
	s_branch .LBB121_2
.LBB121_9:
	s_endpgm
	.section	.rodata,"a",@progbits
	.p2align	6, 0x0
	.amdhsa_kernel _ZL19rocblas_scal_kernelIiLi256E16rocblas_bfloat16ffPKPS0_EviT3_lT4_lT_li
		.amdhsa_group_segment_fixed_size 0
		.amdhsa_private_segment_fixed_size 0
		.amdhsa_kernarg_size 52
		.amdhsa_user_sgpr_count 2
		.amdhsa_user_sgpr_dispatch_ptr 0
		.amdhsa_user_sgpr_queue_ptr 0
		.amdhsa_user_sgpr_kernarg_segment_ptr 1
		.amdhsa_user_sgpr_dispatch_id 0
		.amdhsa_user_sgpr_kernarg_preload_length 0
		.amdhsa_user_sgpr_kernarg_preload_offset 0
		.amdhsa_user_sgpr_private_segment_size 0
		.amdhsa_wavefront_size32 1
		.amdhsa_uses_dynamic_stack 0
		.amdhsa_enable_private_segment 0
		.amdhsa_system_sgpr_workgroup_id_x 1
		.amdhsa_system_sgpr_workgroup_id_y 0
		.amdhsa_system_sgpr_workgroup_id_z 1
		.amdhsa_system_sgpr_workgroup_info 0
		.amdhsa_system_vgpr_workitem_id 0
		.amdhsa_next_free_vgpr 7
		.amdhsa_next_free_sgpr 12
		.amdhsa_named_barrier_count 0
		.amdhsa_reserve_vcc 1
		.amdhsa_float_round_mode_32 0
		.amdhsa_float_round_mode_16_64 0
		.amdhsa_float_denorm_mode_32 3
		.amdhsa_float_denorm_mode_16_64 3
		.amdhsa_fp16_overflow 0
		.amdhsa_memory_ordered 1
		.amdhsa_forward_progress 1
		.amdhsa_inst_pref_size 4
		.amdhsa_round_robin_scheduling 0
		.amdhsa_exception_fp_ieee_invalid_op 0
		.amdhsa_exception_fp_denorm_src 0
		.amdhsa_exception_fp_ieee_div_zero 0
		.amdhsa_exception_fp_ieee_overflow 0
		.amdhsa_exception_fp_ieee_underflow 0
		.amdhsa_exception_fp_ieee_inexact 0
		.amdhsa_exception_int_div_zero 0
	.end_amdhsa_kernel
	.section	.text._ZL19rocblas_scal_kernelIiLi256E16rocblas_bfloat16ffPKPS0_EviT3_lT4_lT_li,"axG",@progbits,_ZL19rocblas_scal_kernelIiLi256E16rocblas_bfloat16ffPKPS0_EviT3_lT4_lT_li,comdat
.Lfunc_end121:
	.size	_ZL19rocblas_scal_kernelIiLi256E16rocblas_bfloat16ffPKPS0_EviT3_lT4_lT_li, .Lfunc_end121-_ZL19rocblas_scal_kernelIiLi256E16rocblas_bfloat16ffPKPS0_EviT3_lT4_lT_li
                                        ; -- End function
	.set _ZL19rocblas_scal_kernelIiLi256E16rocblas_bfloat16ffPKPS0_EviT3_lT4_lT_li.num_vgpr, 7
	.set _ZL19rocblas_scal_kernelIiLi256E16rocblas_bfloat16ffPKPS0_EviT3_lT4_lT_li.num_agpr, 0
	.set _ZL19rocblas_scal_kernelIiLi256E16rocblas_bfloat16ffPKPS0_EviT3_lT4_lT_li.numbered_sgpr, 12
	.set _ZL19rocblas_scal_kernelIiLi256E16rocblas_bfloat16ffPKPS0_EviT3_lT4_lT_li.num_named_barrier, 0
	.set _ZL19rocblas_scal_kernelIiLi256E16rocblas_bfloat16ffPKPS0_EviT3_lT4_lT_li.private_seg_size, 0
	.set _ZL19rocblas_scal_kernelIiLi256E16rocblas_bfloat16ffPKPS0_EviT3_lT4_lT_li.uses_vcc, 1
	.set _ZL19rocblas_scal_kernelIiLi256E16rocblas_bfloat16ffPKPS0_EviT3_lT4_lT_li.uses_flat_scratch, 0
	.set _ZL19rocblas_scal_kernelIiLi256E16rocblas_bfloat16ffPKPS0_EviT3_lT4_lT_li.has_dyn_sized_stack, 0
	.set _ZL19rocblas_scal_kernelIiLi256E16rocblas_bfloat16ffPKPS0_EviT3_lT4_lT_li.has_recursion, 0
	.set _ZL19rocblas_scal_kernelIiLi256E16rocblas_bfloat16ffPKPS0_EviT3_lT4_lT_li.has_indirect_call, 0
	.section	.AMDGPU.csdata,"",@progbits
; Kernel info:
; codeLenInByte = 396
; TotalNumSgprs: 14
; NumVgprs: 7
; ScratchSize: 0
; MemoryBound: 0
; FloatMode: 240
; IeeeMode: 1
; LDSByteSize: 0 bytes/workgroup (compile time only)
; SGPRBlocks: 0
; VGPRBlocks: 0
; NumSGPRsForWavesPerEU: 14
; NumVGPRsForWavesPerEU: 7
; NamedBarCnt: 0
; Occupancy: 16
; WaveLimiterHint : 1
; COMPUTE_PGM_RSRC2:SCRATCH_EN: 0
; COMPUTE_PGM_RSRC2:USER_SGPR: 2
; COMPUTE_PGM_RSRC2:TRAP_HANDLER: 0
; COMPUTE_PGM_RSRC2:TGID_X_EN: 1
; COMPUTE_PGM_RSRC2:TGID_Y_EN: 0
; COMPUTE_PGM_RSRC2:TGID_Z_EN: 1
; COMPUTE_PGM_RSRC2:TIDIG_COMP_CNT: 0
	.section	.text._ZL19rocblas_scal_kernelIlLi256E16rocblas_bfloat16fPKfPKPS0_EviT3_lT4_lT_li,"axG",@progbits,_ZL19rocblas_scal_kernelIlLi256E16rocblas_bfloat16fPKfPKPS0_EviT3_lT4_lT_li,comdat
	.globl	_ZL19rocblas_scal_kernelIlLi256E16rocblas_bfloat16fPKfPKPS0_EviT3_lT4_lT_li ; -- Begin function _ZL19rocblas_scal_kernelIlLi256E16rocblas_bfloat16fPKfPKPS0_EviT3_lT4_lT_li
	.p2align	8
	.type	_ZL19rocblas_scal_kernelIlLi256E16rocblas_bfloat16fPKfPKPS0_EviT3_lT4_lT_li,@function
_ZL19rocblas_scal_kernelIlLi256E16rocblas_bfloat16fPKfPKPS0_EviT3_lT4_lT_li: ; @_ZL19rocblas_scal_kernelIlLi256E16rocblas_bfloat16fPKfPKPS0_EviT3_lT4_lT_li
; %bb.0:
	s_load_b32 s12, s[0:1], 0x38
	s_bfe_u32 s2, ttmp6, 0x40014
	s_lshr_b32 s3, ttmp7, 16
	s_add_co_i32 s2, s2, 1
	s_bfe_u32 s5, ttmp6, 0x40008
	s_mul_i32 s2, s3, s2
	s_getreg_b32 s4, hwreg(HW_REG_IB_STS2, 6, 4)
	s_add_co_i32 s5, s5, s2
	s_cmp_eq_u32 s4, 0
	s_cselect_b32 s2, s3, s5
	s_mov_b32 s3, 0
	s_wait_kmcnt 0x0
	s_cmp_ge_u32 s2, s12
	s_cbranch_scc1 .LBB122_9
; %bb.1:
	s_load_b64 s[6:7], s[0:1], 0x28
	s_bfe_u32 s5, ttmp6, 0x4000c
	s_and_b32 s8, ttmp6, 15
	s_add_co_i32 s5, s5, 1
	v_mov_b32_e32 v3, 0
	s_mul_i32 s5, ttmp9, s5
	s_delay_alu instid0(SALU_CYCLE_1) | instskip(SKIP_2) | instid1(SALU_CYCLE_1)
	s_add_co_i32 s8, s8, s5
	s_cmp_eq_u32 s4, 0
	s_cselect_b32 s4, ttmp9, s8
	v_lshl_or_b32 v2, s4, 8, v0
	s_wait_kmcnt 0x0
	s_delay_alu instid0(VALU_DEP_1)
	v_mul_u64_e32 v[0:1], s[6:7], v[2:3]
	s_clause 0x1
	s_load_b32 s13, s[0:1], 0x0
	s_load_b256 s[4:11], s[0:1], 0x8
	s_wait_kmcnt 0x0
	v_cmp_gt_u32_e32 vcc_lo, s13, v2
	s_lshl_b64 s[10:11], s[10:11], 1
	s_branch .LBB122_4
.LBB122_2:                              ;   in Loop: Header=BB122_4 Depth=1
	s_or_b32 exec_lo, exec_lo, s13
	flat_store_d16_hi_b16 v[2:3], v5
.LBB122_3:                              ;   in Loop: Header=BB122_4 Depth=1
	s_wait_xcnt 0x0
	s_or_b32 exec_lo, exec_lo, s1
	s_add_co_i32 s2, s2, 0x10000
	s_delay_alu instid0(SALU_CYCLE_1)
	s_cmp_lt_u32 s2, s12
	s_cbranch_scc0 .LBB122_9
.LBB122_4:                              ; =>This Inner Loop Header: Depth=1
	s_mul_u64 s[0:1], s[6:7], s[2:3]
	s_delay_alu instid0(SALU_CYCLE_1) | instskip(NEXT) | instid1(SALU_CYCLE_1)
	s_lshl_b64 s[0:1], s[0:1], 2
	s_add_nc_u64 s[0:1], s[4:5], s[0:1]
	s_load_b32 s0, s[0:1], 0x0
	s_wait_kmcnt 0x0
	s_cmp_neq_f32 s0, 1.0
	s_wait_xcnt 0x0
	s_cselect_b32 s1, -1, 0
	s_delay_alu instid0(SALU_CYCLE_1) | instskip(NEXT) | instid1(SALU_CYCLE_1)
	s_and_b32 s13, vcc_lo, s1
	s_and_saveexec_b32 s1, s13
	s_cbranch_execz .LBB122_3
; %bb.5:                                ;   in Loop: Header=BB122_4 Depth=1
	s_lshl_b64 s[14:15], s[2:3], 3
	s_delay_alu instid0(SALU_CYCLE_1)
	s_add_nc_u64 s[14:15], s[8:9], s[14:15]
	s_load_b64 s[14:15], s[14:15], 0x0
	s_wait_kmcnt 0x0
	s_wait_xcnt 0x0
	s_add_nc_u64 s[14:15], s[14:15], s[10:11]
	s_delay_alu instid0(VALU_DEP_2) | instid1(SALU_CYCLE_1)
	v_lshl_add_u64 v[2:3], v[0:1], 1, s[14:15]
	flat_load_u16 v4, v[2:3]
	s_wait_loadcnt_dscnt 0x0
	v_lshlrev_b32_e32 v4, 16, v4
	s_delay_alu instid0(VALU_DEP_1) | instskip(NEXT) | instid1(VALU_DEP_1)
	v_mul_f32_e32 v4, s0, v4
	v_and_b32_e32 v5, 0x7f800000, v4
	s_delay_alu instid0(VALU_DEP_1) | instskip(SKIP_2) | instid1(SALU_CYCLE_1)
	v_cmp_ne_u32_e64 s0, 0x7f800000, v5
                                        ; implicit-def: $vgpr5
	s_wait_xcnt 0x0
	s_and_saveexec_b32 s13, s0
	s_xor_b32 s0, exec_lo, s13
; %bb.6:                                ;   in Loop: Header=BB122_4 Depth=1
	v_bfe_u32 v5, v4, 16, 1
	s_delay_alu instid0(VALU_DEP_1)
	v_add3_u32 v5, v4, v5, 0x7fff
                                        ; implicit-def: $vgpr4
; %bb.7:                                ;   in Loop: Header=BB122_4 Depth=1
	s_and_not1_saveexec_b32 s13, s0
	s_cbranch_execz .LBB122_2
; %bb.8:                                ;   in Loop: Header=BB122_4 Depth=1
	v_and_b32_e32 v5, 0xffff, v4
	v_or_b32_e32 v6, 0x10000, v4
	s_delay_alu instid0(VALU_DEP_2) | instskip(NEXT) | instid1(VALU_DEP_1)
	v_cmp_eq_u32_e64 s0, 0, v5
	v_cndmask_b32_e64 v5, v6, v4, s0
	s_branch .LBB122_2
.LBB122_9:
	s_endpgm
	.section	.rodata,"a",@progbits
	.p2align	6, 0x0
	.amdhsa_kernel _ZL19rocblas_scal_kernelIlLi256E16rocblas_bfloat16fPKfPKPS0_EviT3_lT4_lT_li
		.amdhsa_group_segment_fixed_size 0
		.amdhsa_private_segment_fixed_size 0
		.amdhsa_kernarg_size 60
		.amdhsa_user_sgpr_count 2
		.amdhsa_user_sgpr_dispatch_ptr 0
		.amdhsa_user_sgpr_queue_ptr 0
		.amdhsa_user_sgpr_kernarg_segment_ptr 1
		.amdhsa_user_sgpr_dispatch_id 0
		.amdhsa_user_sgpr_kernarg_preload_length 0
		.amdhsa_user_sgpr_kernarg_preload_offset 0
		.amdhsa_user_sgpr_private_segment_size 0
		.amdhsa_wavefront_size32 1
		.amdhsa_uses_dynamic_stack 0
		.amdhsa_enable_private_segment 0
		.amdhsa_system_sgpr_workgroup_id_x 1
		.amdhsa_system_sgpr_workgroup_id_y 0
		.amdhsa_system_sgpr_workgroup_id_z 1
		.amdhsa_system_sgpr_workgroup_info 0
		.amdhsa_system_vgpr_workitem_id 0
		.amdhsa_next_free_vgpr 7
		.amdhsa_next_free_sgpr 16
		.amdhsa_named_barrier_count 0
		.amdhsa_reserve_vcc 1
		.amdhsa_float_round_mode_32 0
		.amdhsa_float_round_mode_16_64 0
		.amdhsa_float_denorm_mode_32 3
		.amdhsa_float_denorm_mode_16_64 3
		.amdhsa_fp16_overflow 0
		.amdhsa_memory_ordered 1
		.amdhsa_forward_progress 1
		.amdhsa_inst_pref_size 4
		.amdhsa_round_robin_scheduling 0
		.amdhsa_exception_fp_ieee_invalid_op 0
		.amdhsa_exception_fp_denorm_src 0
		.amdhsa_exception_fp_ieee_div_zero 0
		.amdhsa_exception_fp_ieee_overflow 0
		.amdhsa_exception_fp_ieee_underflow 0
		.amdhsa_exception_fp_ieee_inexact 0
		.amdhsa_exception_int_div_zero 0
	.end_amdhsa_kernel
	.section	.text._ZL19rocblas_scal_kernelIlLi256E16rocblas_bfloat16fPKfPKPS0_EviT3_lT4_lT_li,"axG",@progbits,_ZL19rocblas_scal_kernelIlLi256E16rocblas_bfloat16fPKfPKPS0_EviT3_lT4_lT_li,comdat
.Lfunc_end122:
	.size	_ZL19rocblas_scal_kernelIlLi256E16rocblas_bfloat16fPKfPKPS0_EviT3_lT4_lT_li, .Lfunc_end122-_ZL19rocblas_scal_kernelIlLi256E16rocblas_bfloat16fPKfPKPS0_EviT3_lT4_lT_li
                                        ; -- End function
	.set _ZL19rocblas_scal_kernelIlLi256E16rocblas_bfloat16fPKfPKPS0_EviT3_lT4_lT_li.num_vgpr, 7
	.set _ZL19rocblas_scal_kernelIlLi256E16rocblas_bfloat16fPKfPKPS0_EviT3_lT4_lT_li.num_agpr, 0
	.set _ZL19rocblas_scal_kernelIlLi256E16rocblas_bfloat16fPKfPKPS0_EviT3_lT4_lT_li.numbered_sgpr, 16
	.set _ZL19rocblas_scal_kernelIlLi256E16rocblas_bfloat16fPKfPKPS0_EviT3_lT4_lT_li.num_named_barrier, 0
	.set _ZL19rocblas_scal_kernelIlLi256E16rocblas_bfloat16fPKfPKPS0_EviT3_lT4_lT_li.private_seg_size, 0
	.set _ZL19rocblas_scal_kernelIlLi256E16rocblas_bfloat16fPKfPKPS0_EviT3_lT4_lT_li.uses_vcc, 1
	.set _ZL19rocblas_scal_kernelIlLi256E16rocblas_bfloat16fPKfPKPS0_EviT3_lT4_lT_li.uses_flat_scratch, 0
	.set _ZL19rocblas_scal_kernelIlLi256E16rocblas_bfloat16fPKfPKPS0_EviT3_lT4_lT_li.has_dyn_sized_stack, 0
	.set _ZL19rocblas_scal_kernelIlLi256E16rocblas_bfloat16fPKfPKPS0_EviT3_lT4_lT_li.has_recursion, 0
	.set _ZL19rocblas_scal_kernelIlLi256E16rocblas_bfloat16fPKfPKPS0_EviT3_lT4_lT_li.has_indirect_call, 0
	.section	.AMDGPU.csdata,"",@progbits
; Kernel info:
; codeLenInByte = 456
; TotalNumSgprs: 18
; NumVgprs: 7
; ScratchSize: 0
; MemoryBound: 0
; FloatMode: 240
; IeeeMode: 1
; LDSByteSize: 0 bytes/workgroup (compile time only)
; SGPRBlocks: 0
; VGPRBlocks: 0
; NumSGPRsForWavesPerEU: 18
; NumVGPRsForWavesPerEU: 7
; NamedBarCnt: 0
; Occupancy: 16
; WaveLimiterHint : 1
; COMPUTE_PGM_RSRC2:SCRATCH_EN: 0
; COMPUTE_PGM_RSRC2:USER_SGPR: 2
; COMPUTE_PGM_RSRC2:TRAP_HANDLER: 0
; COMPUTE_PGM_RSRC2:TGID_X_EN: 1
; COMPUTE_PGM_RSRC2:TGID_Y_EN: 0
; COMPUTE_PGM_RSRC2:TGID_Z_EN: 1
; COMPUTE_PGM_RSRC2:TIDIG_COMP_CNT: 0
	.section	.text._ZL19rocblas_scal_kernelIlLi256E16rocblas_bfloat16ffPKPS0_EviT3_lT4_lT_li,"axG",@progbits,_ZL19rocblas_scal_kernelIlLi256E16rocblas_bfloat16ffPKPS0_EviT3_lT4_lT_li,comdat
	.globl	_ZL19rocblas_scal_kernelIlLi256E16rocblas_bfloat16ffPKPS0_EviT3_lT4_lT_li ; -- Begin function _ZL19rocblas_scal_kernelIlLi256E16rocblas_bfloat16ffPKPS0_EviT3_lT4_lT_li
	.p2align	8
	.type	_ZL19rocblas_scal_kernelIlLi256E16rocblas_bfloat16ffPKPS0_EviT3_lT4_lT_li,@function
_ZL19rocblas_scal_kernelIlLi256E16rocblas_bfloat16ffPKPS0_EviT3_lT4_lT_li: ; @_ZL19rocblas_scal_kernelIlLi256E16rocblas_bfloat16ffPKPS0_EviT3_lT4_lT_li
; %bb.0:
	s_load_b32 s8, s[0:1], 0x30
	s_bfe_u32 s2, ttmp6, 0x40014
	s_lshr_b32 s3, ttmp7, 16
	s_add_co_i32 s2, s2, 1
	s_bfe_u32 s5, ttmp6, 0x40008
	s_mul_i32 s4, s3, s2
	s_getreg_b32 s2, hwreg(HW_REG_IB_STS2, 6, 4)
	s_add_co_i32 s5, s5, s4
	s_cmp_eq_u32 s2, 0
	s_cselect_b32 s9, s3, s5
	s_wait_kmcnt 0x0
	s_cmp_ge_u32 s9, s8
	s_cbranch_scc1 .LBB123_9
; %bb.1:
	s_load_b64 s[4:5], s[0:1], 0x20
	s_bfe_u32 s3, ttmp6, 0x4000c
	s_and_b32 s6, ttmp6, 15
	s_add_co_i32 s3, s3, 1
	v_mov_b32_e32 v3, 0
	s_mul_i32 s3, ttmp9, s3
	s_delay_alu instid0(SALU_CYCLE_1) | instskip(SKIP_2) | instid1(SALU_CYCLE_1)
	s_add_co_i32 s6, s6, s3
	s_cmp_eq_u32 s2, 0
	s_cselect_b32 s2, ttmp9, s6
	v_lshl_or_b32 v2, s2, 8, v0
	s_wait_kmcnt 0x0
	s_delay_alu instid0(VALU_DEP_1)
	v_mul_u64_e32 v[0:1], s[4:5], v[2:3]
	s_clause 0x1
	s_load_b64 s[2:3], s[0:1], 0x0
	s_load_b128 s[4:7], s[0:1], 0x10
	s_wait_kmcnt 0x0
	s_cmp_neq_f32 s3, 1.0
	v_cmp_gt_u32_e32 vcc_lo, s2, v2
	s_cselect_b32 s0, -1, 0
	s_delay_alu instid0(SALU_CYCLE_1)
	s_and_b32 s2, vcc_lo, s0
	s_lshl_b64 s[0:1], s[6:7], 1
	s_branch .LBB123_4
.LBB123_2:                              ;   in Loop: Header=BB123_4 Depth=1
	s_or_b32 exec_lo, exec_lo, s7
	flat_store_d16_hi_b16 v[2:3], v5
.LBB123_3:                              ;   in Loop: Header=BB123_4 Depth=1
	s_wait_xcnt 0x0
	s_or_b32 exec_lo, exec_lo, s6
	s_add_co_i32 s9, s9, 0x10000
	s_delay_alu instid0(SALU_CYCLE_1)
	s_cmp_lt_u32 s9, s8
	s_cbranch_scc0 .LBB123_9
.LBB123_4:                              ; =>This Inner Loop Header: Depth=1
	s_and_saveexec_b32 s6, s2
	s_cbranch_execz .LBB123_3
; %bb.5:                                ;   in Loop: Header=BB123_4 Depth=1
	s_load_b64 s[10:11], s[4:5], s9 offset:0x0 scale_offset
	s_wait_kmcnt 0x0
	s_add_nc_u64 s[10:11], s[10:11], s[0:1]
	s_delay_alu instid0(VALU_DEP_2) | instid1(SALU_CYCLE_1)
	v_lshl_add_u64 v[2:3], v[0:1], 1, s[10:11]
	flat_load_u16 v4, v[2:3]
	s_wait_loadcnt_dscnt 0x0
	v_lshlrev_b32_e32 v4, 16, v4
	s_delay_alu instid0(VALU_DEP_1) | instskip(NEXT) | instid1(VALU_DEP_1)
	v_mul_f32_e32 v4, s3, v4
	v_and_b32_e32 v5, 0x7f800000, v4
	s_delay_alu instid0(VALU_DEP_1) | instskip(SKIP_2) | instid1(SALU_CYCLE_1)
	v_cmp_ne_u32_e32 vcc_lo, 0x7f800000, v5
                                        ; implicit-def: $vgpr5
	s_wait_xcnt 0x0
	s_and_saveexec_b32 s7, vcc_lo
	s_xor_b32 s7, exec_lo, s7
; %bb.6:                                ;   in Loop: Header=BB123_4 Depth=1
	v_bfe_u32 v5, v4, 16, 1
	s_delay_alu instid0(VALU_DEP_1)
	v_add3_u32 v5, v4, v5, 0x7fff
                                        ; implicit-def: $vgpr4
; %bb.7:                                ;   in Loop: Header=BB123_4 Depth=1
	s_and_not1_saveexec_b32 s7, s7
	s_cbranch_execz .LBB123_2
; %bb.8:                                ;   in Loop: Header=BB123_4 Depth=1
	v_and_b32_e32 v5, 0xffff, v4
	v_or_b32_e32 v6, 0x10000, v4
	s_delay_alu instid0(VALU_DEP_2) | instskip(NEXT) | instid1(VALU_DEP_2)
	v_cmp_eq_u32_e32 vcc_lo, 0, v5
	v_cndmask_b32_e32 v5, v6, v4, vcc_lo
	s_branch .LBB123_2
.LBB123_9:
	s_endpgm
	.section	.rodata,"a",@progbits
	.p2align	6, 0x0
	.amdhsa_kernel _ZL19rocblas_scal_kernelIlLi256E16rocblas_bfloat16ffPKPS0_EviT3_lT4_lT_li
		.amdhsa_group_segment_fixed_size 0
		.amdhsa_private_segment_fixed_size 0
		.amdhsa_kernarg_size 52
		.amdhsa_user_sgpr_count 2
		.amdhsa_user_sgpr_dispatch_ptr 0
		.amdhsa_user_sgpr_queue_ptr 0
		.amdhsa_user_sgpr_kernarg_segment_ptr 1
		.amdhsa_user_sgpr_dispatch_id 0
		.amdhsa_user_sgpr_kernarg_preload_length 0
		.amdhsa_user_sgpr_kernarg_preload_offset 0
		.amdhsa_user_sgpr_private_segment_size 0
		.amdhsa_wavefront_size32 1
		.amdhsa_uses_dynamic_stack 0
		.amdhsa_enable_private_segment 0
		.amdhsa_system_sgpr_workgroup_id_x 1
		.amdhsa_system_sgpr_workgroup_id_y 0
		.amdhsa_system_sgpr_workgroup_id_z 1
		.amdhsa_system_sgpr_workgroup_info 0
		.amdhsa_system_vgpr_workitem_id 0
		.amdhsa_next_free_vgpr 7
		.amdhsa_next_free_sgpr 12
		.amdhsa_named_barrier_count 0
		.amdhsa_reserve_vcc 1
		.amdhsa_float_round_mode_32 0
		.amdhsa_float_round_mode_16_64 0
		.amdhsa_float_denorm_mode_32 3
		.amdhsa_float_denorm_mode_16_64 3
		.amdhsa_fp16_overflow 0
		.amdhsa_memory_ordered 1
		.amdhsa_forward_progress 1
		.amdhsa_inst_pref_size 4
		.amdhsa_round_robin_scheduling 0
		.amdhsa_exception_fp_ieee_invalid_op 0
		.amdhsa_exception_fp_denorm_src 0
		.amdhsa_exception_fp_ieee_div_zero 0
		.amdhsa_exception_fp_ieee_overflow 0
		.amdhsa_exception_fp_ieee_underflow 0
		.amdhsa_exception_fp_ieee_inexact 0
		.amdhsa_exception_int_div_zero 0
	.end_amdhsa_kernel
	.section	.text._ZL19rocblas_scal_kernelIlLi256E16rocblas_bfloat16ffPKPS0_EviT3_lT4_lT_li,"axG",@progbits,_ZL19rocblas_scal_kernelIlLi256E16rocblas_bfloat16ffPKPS0_EviT3_lT4_lT_li,comdat
.Lfunc_end123:
	.size	_ZL19rocblas_scal_kernelIlLi256E16rocblas_bfloat16ffPKPS0_EviT3_lT4_lT_li, .Lfunc_end123-_ZL19rocblas_scal_kernelIlLi256E16rocblas_bfloat16ffPKPS0_EviT3_lT4_lT_li
                                        ; -- End function
	.set _ZL19rocblas_scal_kernelIlLi256E16rocblas_bfloat16ffPKPS0_EviT3_lT4_lT_li.num_vgpr, 7
	.set _ZL19rocblas_scal_kernelIlLi256E16rocblas_bfloat16ffPKPS0_EviT3_lT4_lT_li.num_agpr, 0
	.set _ZL19rocblas_scal_kernelIlLi256E16rocblas_bfloat16ffPKPS0_EviT3_lT4_lT_li.numbered_sgpr, 12
	.set _ZL19rocblas_scal_kernelIlLi256E16rocblas_bfloat16ffPKPS0_EviT3_lT4_lT_li.num_named_barrier, 0
	.set _ZL19rocblas_scal_kernelIlLi256E16rocblas_bfloat16ffPKPS0_EviT3_lT4_lT_li.private_seg_size, 0
	.set _ZL19rocblas_scal_kernelIlLi256E16rocblas_bfloat16ffPKPS0_EviT3_lT4_lT_li.uses_vcc, 1
	.set _ZL19rocblas_scal_kernelIlLi256E16rocblas_bfloat16ffPKPS0_EviT3_lT4_lT_li.uses_flat_scratch, 0
	.set _ZL19rocblas_scal_kernelIlLi256E16rocblas_bfloat16ffPKPS0_EviT3_lT4_lT_li.has_dyn_sized_stack, 0
	.set _ZL19rocblas_scal_kernelIlLi256E16rocblas_bfloat16ffPKPS0_EviT3_lT4_lT_li.has_recursion, 0
	.set _ZL19rocblas_scal_kernelIlLi256E16rocblas_bfloat16ffPKPS0_EviT3_lT4_lT_li.has_indirect_call, 0
	.section	.AMDGPU.csdata,"",@progbits
; Kernel info:
; codeLenInByte = 392
; TotalNumSgprs: 14
; NumVgprs: 7
; ScratchSize: 0
; MemoryBound: 0
; FloatMode: 240
; IeeeMode: 1
; LDSByteSize: 0 bytes/workgroup (compile time only)
; SGPRBlocks: 0
; VGPRBlocks: 0
; NumSGPRsForWavesPerEU: 14
; NumVGPRsForWavesPerEU: 7
; NamedBarCnt: 0
; Occupancy: 16
; WaveLimiterHint : 1
; COMPUTE_PGM_RSRC2:SCRATCH_EN: 0
; COMPUTE_PGM_RSRC2:USER_SGPR: 2
; COMPUTE_PGM_RSRC2:TRAP_HANDLER: 0
; COMPUTE_PGM_RSRC2:TGID_X_EN: 1
; COMPUTE_PGM_RSRC2:TGID_Y_EN: 0
; COMPUTE_PGM_RSRC2:TGID_Z_EN: 1
; COMPUTE_PGM_RSRC2:TIDIG_COMP_CNT: 0
	.section	.text._ZL22rocblas_sscal_2_kernelILi256EddPKdPdEviT2_lT3_lli,"axG",@progbits,_ZL22rocblas_sscal_2_kernelILi256EddPKdPdEviT2_lT3_lli,comdat
	.globl	_ZL22rocblas_sscal_2_kernelILi256EddPKdPdEviT2_lT3_lli ; -- Begin function _ZL22rocblas_sscal_2_kernelILi256EddPKdPdEviT2_lT3_lli
	.p2align	8
	.type	_ZL22rocblas_sscal_2_kernelILi256EddPKdPdEviT2_lT3_lli,@function
_ZL22rocblas_sscal_2_kernelILi256EddPKdPdEviT2_lT3_lli: ; @_ZL22rocblas_sscal_2_kernelILi256EddPKdPdEviT2_lT3_lli
; %bb.0:
	s_load_b32 s14, s[0:1], 0x30
	s_bfe_u32 s2, ttmp6, 0x40014
	s_lshr_b32 s3, ttmp7, 16
	s_add_co_i32 s2, s2, 1
	s_bfe_u32 s4, ttmp6, 0x40008
	s_mul_i32 s2, s3, s2
	s_getreg_b32 s12, hwreg(HW_REG_IB_STS2, 6, 4)
	s_add_co_i32 s4, s4, s2
	s_cmp_eq_u32 s12, 0
	s_cselect_b32 s2, s3, s4
	s_mov_b32 s3, 0
	s_wait_kmcnt 0x0
	s_cmp_ge_u32 s2, s14
	s_cbranch_scc1 .LBB124_9
; %bb.1:
	s_clause 0x2
	s_load_b128 s[4:7], s[0:1], 0x20
	s_load_b32 s13, s[0:1], 0x0
	s_load_b64 s[16:17], s[0:1], 0x18
	s_bfe_u32 s15, ttmp6, 0x4000c
	s_load_b128 s[8:11], s[0:1], 0x8
	s_add_co_i32 s15, s15, 1
	s_wait_xcnt 0x0
	s_and_b32 s0, ttmp6, 15
	s_mul_i32 s1, ttmp9, s15
	v_lshlrev_b32_e32 v0, 1, v0
	s_add_co_i32 s0, s0, s1
	s_wait_kmcnt 0x0
	s_lshl_b64 s[4:5], s[4:5], 3
	s_cmp_eq_u32 s12, 0
	s_add_nc_u64 s[4:5], s[16:17], s[4:5]
	s_cselect_b32 s0, ttmp9, s0
	s_bitcmp1_b32 s13, 0
	v_lshl_or_b32 v0, s0, 9, v0
	s_cselect_b32 s1, -1, 0
	s_add_co_i32 s0, s13, -1
	s_delay_alu instid0(VALU_DEP_1) | instskip(SKIP_1) | instid1(VALU_DEP_2)
	v_or_b32_e32 v1, 1, v0
	v_cmp_eq_u32_e32 vcc_lo, s0, v0
	v_cmp_gt_u32_e64 s0, s13, v1
	v_mov_b32_e32 v1, 0
	s_and_b32 s1, s1, vcc_lo
	s_branch .LBB124_4
.LBB124_2:                              ;   in Loop: Header=BB124_4 Depth=1
	s_wait_xcnt 0x0
	s_or_b32 exec_lo, exec_lo, s15
.LBB124_3:                              ;   in Loop: Header=BB124_4 Depth=1
	s_add_co_i32 s2, s2, 0x10000
	s_delay_alu instid0(SALU_CYCLE_1)
	s_cmp_lt_u32 s2, s14
	s_cbranch_scc0 .LBB124_9
.LBB124_4:                              ; =>This Inner Loop Header: Depth=1
	s_wait_xcnt 0x0
	s_mul_u64 s[12:13], s[10:11], s[2:3]
	s_delay_alu instid0(SALU_CYCLE_1) | instskip(NEXT) | instid1(SALU_CYCLE_1)
	s_lshl_b64 s[12:13], s[12:13], 3
	s_add_nc_u64 s[12:13], s[8:9], s[12:13]
	s_load_b64 s[12:13], s[12:13], 0x0
	s_wait_kmcnt 0x0
	v_cmp_eq_f64_e64 s15, s[12:13], 1.0
	s_and_b32 vcc_lo, exec_lo, s15
	s_cbranch_vccnz .LBB124_3
; %bb.5:                                ;   in Loop: Header=BB124_4 Depth=1
	s_mul_u64 s[16:17], s[6:7], s[2:3]
	s_delay_alu instid0(SALU_CYCLE_1) | instskip(NEXT) | instid1(SALU_CYCLE_1)
	s_lshl_b64 s[16:17], s[16:17], 3
	s_add_nc_u64 s[16:17], s[4:5], s[16:17]
	s_delay_alu instid0(SALU_CYCLE_1)
	v_lshl_add_u64 v[2:3], v[0:1], 3, s[16:17]
	s_and_saveexec_b32 s15, s0
	s_cbranch_execz .LBB124_7
; %bb.6:                                ;   in Loop: Header=BB124_4 Depth=1
	global_load_b128 v[4:7], v[2:3], off
	s_wait_loadcnt 0x0
	v_mul_f64_e32 v[4:5], s[12:13], v[4:5]
	v_mul_f64_e32 v[6:7], s[12:13], v[6:7]
	global_store_b128 v[2:3], v[4:7], off
.LBB124_7:                              ;   in Loop: Header=BB124_4 Depth=1
	s_wait_xcnt 0x0
	s_or_b32 exec_lo, exec_lo, s15
	s_and_saveexec_b32 s15, s1
	s_cbranch_execz .LBB124_2
; %bb.8:                                ;   in Loop: Header=BB124_4 Depth=1
	global_load_b64 v[4:5], v[2:3], off
	s_wait_loadcnt 0x0
	v_mul_f64_e32 v[4:5], s[12:13], v[4:5]
	global_store_b64 v[2:3], v[4:5], off
	s_branch .LBB124_2
.LBB124_9:
	s_endpgm
	.section	.rodata,"a",@progbits
	.p2align	6, 0x0
	.amdhsa_kernel _ZL22rocblas_sscal_2_kernelILi256EddPKdPdEviT2_lT3_lli
		.amdhsa_group_segment_fixed_size 0
		.amdhsa_private_segment_fixed_size 0
		.amdhsa_kernarg_size 52
		.amdhsa_user_sgpr_count 2
		.amdhsa_user_sgpr_dispatch_ptr 0
		.amdhsa_user_sgpr_queue_ptr 0
		.amdhsa_user_sgpr_kernarg_segment_ptr 1
		.amdhsa_user_sgpr_dispatch_id 0
		.amdhsa_user_sgpr_kernarg_preload_length 0
		.amdhsa_user_sgpr_kernarg_preload_offset 0
		.amdhsa_user_sgpr_private_segment_size 0
		.amdhsa_wavefront_size32 1
		.amdhsa_uses_dynamic_stack 0
		.amdhsa_enable_private_segment 0
		.amdhsa_system_sgpr_workgroup_id_x 1
		.amdhsa_system_sgpr_workgroup_id_y 0
		.amdhsa_system_sgpr_workgroup_id_z 1
		.amdhsa_system_sgpr_workgroup_info 0
		.amdhsa_system_vgpr_workitem_id 0
		.amdhsa_next_free_vgpr 8
		.amdhsa_next_free_sgpr 18
		.amdhsa_named_barrier_count 0
		.amdhsa_reserve_vcc 1
		.amdhsa_float_round_mode_32 0
		.amdhsa_float_round_mode_16_64 0
		.amdhsa_float_denorm_mode_32 3
		.amdhsa_float_denorm_mode_16_64 3
		.amdhsa_fp16_overflow 0
		.amdhsa_memory_ordered 1
		.amdhsa_forward_progress 1
		.amdhsa_inst_pref_size 4
		.amdhsa_round_robin_scheduling 0
		.amdhsa_exception_fp_ieee_invalid_op 0
		.amdhsa_exception_fp_denorm_src 0
		.amdhsa_exception_fp_ieee_div_zero 0
		.amdhsa_exception_fp_ieee_overflow 0
		.amdhsa_exception_fp_ieee_underflow 0
		.amdhsa_exception_fp_ieee_inexact 0
		.amdhsa_exception_int_div_zero 0
	.end_amdhsa_kernel
	.section	.text._ZL22rocblas_sscal_2_kernelILi256EddPKdPdEviT2_lT3_lli,"axG",@progbits,_ZL22rocblas_sscal_2_kernelILi256EddPKdPdEviT2_lT3_lli,comdat
.Lfunc_end124:
	.size	_ZL22rocblas_sscal_2_kernelILi256EddPKdPdEviT2_lT3_lli, .Lfunc_end124-_ZL22rocblas_sscal_2_kernelILi256EddPKdPdEviT2_lT3_lli
                                        ; -- End function
	.set _ZL22rocblas_sscal_2_kernelILi256EddPKdPdEviT2_lT3_lli.num_vgpr, 8
	.set _ZL22rocblas_sscal_2_kernelILi256EddPKdPdEviT2_lT3_lli.num_agpr, 0
	.set _ZL22rocblas_sscal_2_kernelILi256EddPKdPdEviT2_lT3_lli.numbered_sgpr, 18
	.set _ZL22rocblas_sscal_2_kernelILi256EddPKdPdEviT2_lT3_lli.num_named_barrier, 0
	.set _ZL22rocblas_sscal_2_kernelILi256EddPKdPdEviT2_lT3_lli.private_seg_size, 0
	.set _ZL22rocblas_sscal_2_kernelILi256EddPKdPdEviT2_lT3_lli.uses_vcc, 1
	.set _ZL22rocblas_sscal_2_kernelILi256EddPKdPdEviT2_lT3_lli.uses_flat_scratch, 0
	.set _ZL22rocblas_sscal_2_kernelILi256EddPKdPdEviT2_lT3_lli.has_dyn_sized_stack, 0
	.set _ZL22rocblas_sscal_2_kernelILi256EddPKdPdEviT2_lT3_lli.has_recursion, 0
	.set _ZL22rocblas_sscal_2_kernelILi256EddPKdPdEviT2_lT3_lli.has_indirect_call, 0
	.section	.AMDGPU.csdata,"",@progbits
; Kernel info:
; codeLenInByte = 412
; TotalNumSgprs: 20
; NumVgprs: 8
; ScratchSize: 0
; MemoryBound: 0
; FloatMode: 240
; IeeeMode: 1
; LDSByteSize: 0 bytes/workgroup (compile time only)
; SGPRBlocks: 0
; VGPRBlocks: 0
; NumSGPRsForWavesPerEU: 20
; NumVGPRsForWavesPerEU: 8
; NamedBarCnt: 0
; Occupancy: 16
; WaveLimiterHint : 0
; COMPUTE_PGM_RSRC2:SCRATCH_EN: 0
; COMPUTE_PGM_RSRC2:USER_SGPR: 2
; COMPUTE_PGM_RSRC2:TRAP_HANDLER: 0
; COMPUTE_PGM_RSRC2:TGID_X_EN: 1
; COMPUTE_PGM_RSRC2:TGID_Y_EN: 0
; COMPUTE_PGM_RSRC2:TGID_Z_EN: 1
; COMPUTE_PGM_RSRC2:TIDIG_COMP_CNT: 0
	.section	.text._ZL22rocblas_sscal_2_kernelILi256EdddPdEviT2_lT3_lli,"axG",@progbits,_ZL22rocblas_sscal_2_kernelILi256EdddPdEviT2_lT3_lli,comdat
	.globl	_ZL22rocblas_sscal_2_kernelILi256EdddPdEviT2_lT3_lli ; -- Begin function _ZL22rocblas_sscal_2_kernelILi256EdddPdEviT2_lT3_lli
	.p2align	8
	.type	_ZL22rocblas_sscal_2_kernelILi256EdddPdEviT2_lT3_lli,@function
_ZL22rocblas_sscal_2_kernelILi256EdddPdEviT2_lT3_lli: ; @_ZL22rocblas_sscal_2_kernelILi256EdddPdEviT2_lT3_lli
; %bb.0:
	s_load_b32 s10, s[0:1], 0x30
	s_bfe_u32 s2, ttmp6, 0x40014
	s_lshr_b32 s3, ttmp7, 16
	s_add_co_i32 s2, s2, 1
	s_bfe_u32 s4, ttmp6, 0x40008
	s_mul_i32 s2, s3, s2
	s_getreg_b32 s11, hwreg(HW_REG_IB_STS2, 6, 4)
	s_add_co_i32 s4, s4, s2
	s_cmp_eq_u32 s11, 0
	s_cselect_b32 s2, s3, s4
	s_mov_b32 s3, 0
	s_wait_kmcnt 0x0
	s_cmp_ge_u32 s2, s10
	s_cbranch_scc1 .LBB125_9
; %bb.1:
	s_clause 0x3
	s_load_b128 s[4:7], s[0:1], 0x20
	s_load_b32 s14, s[0:1], 0x0
	s_load_b64 s[12:13], s[0:1], 0x18
	s_load_b64 s[8:9], s[0:1], 0x8
	s_bfe_u32 s15, ttmp6, 0x4000c
	s_wait_xcnt 0x0
	s_and_b32 s0, ttmp6, 15
	s_add_co_i32 s15, s15, 1
	v_dual_mov_b32 v1, 0 :: v_dual_lshlrev_b32 v0, 1, v0
	s_mul_i32 s1, ttmp9, s15
	s_delay_alu instid0(SALU_CYCLE_1)
	s_add_co_i32 s0, s0, s1
	s_wait_kmcnt 0x0
	s_lshl_b64 s[4:5], s[4:5], 3
	s_cmp_eq_u32 s11, 0
	v_cmp_neq_f64_e64 s1, s[8:9], 1.0
	s_cselect_b32 s0, ttmp9, s0
	s_bitcmp1_b32 s14, 0
	v_lshl_or_b32 v0, s0, 9, v0
	s_cselect_b32 s11, -1, 0
	s_add_co_i32 s0, s14, -1
	s_add_nc_u64 s[4:5], s[12:13], s[4:5]
	s_delay_alu instid0(VALU_DEP_1) | instskip(SKIP_1) | instid1(VALU_DEP_2)
	v_or_b32_e32 v2, 1, v0
	v_cmp_eq_u32_e32 vcc_lo, s0, v0
	v_cmp_gt_u32_e64 s0, s14, v2
	s_and_b32 s11, s11, vcc_lo
	s_branch .LBB125_4
.LBB125_2:                              ;   in Loop: Header=BB125_4 Depth=1
	s_wait_xcnt 0x0
	s_or_b32 exec_lo, exec_lo, s12
.LBB125_3:                              ;   in Loop: Header=BB125_4 Depth=1
	s_add_co_i32 s2, s2, 0x10000
	s_delay_alu instid0(SALU_CYCLE_1)
	s_cmp_lt_u32 s2, s10
	s_cbranch_scc0 .LBB125_9
.LBB125_4:                              ; =>This Inner Loop Header: Depth=1
	s_and_not1_b32 vcc_lo, exec_lo, s1
	s_cbranch_vccnz .LBB125_3
; %bb.5:                                ;   in Loop: Header=BB125_4 Depth=1
	s_mul_u64 s[12:13], s[6:7], s[2:3]
	s_delay_alu instid0(SALU_CYCLE_1) | instskip(NEXT) | instid1(SALU_CYCLE_1)
	s_lshl_b64 s[12:13], s[12:13], 3
	s_add_nc_u64 s[12:13], s[4:5], s[12:13]
	s_delay_alu instid0(SALU_CYCLE_1)
	v_lshl_add_u64 v[2:3], v[0:1], 3, s[12:13]
	s_and_saveexec_b32 s12, s0
	s_cbranch_execz .LBB125_7
; %bb.6:                                ;   in Loop: Header=BB125_4 Depth=1
	global_load_b128 v[4:7], v[2:3], off
	s_wait_loadcnt 0x0
	v_mul_f64_e32 v[4:5], s[8:9], v[4:5]
	v_mul_f64_e32 v[6:7], s[8:9], v[6:7]
	global_store_b128 v[2:3], v[4:7], off
.LBB125_7:                              ;   in Loop: Header=BB125_4 Depth=1
	s_wait_xcnt 0x0
	s_or_b32 exec_lo, exec_lo, s12
	s_and_saveexec_b32 s12, s11
	s_cbranch_execz .LBB125_2
; %bb.8:                                ;   in Loop: Header=BB125_4 Depth=1
	global_load_b64 v[4:5], v[2:3], off
	s_wait_loadcnt 0x0
	v_mul_f64_e32 v[4:5], s[8:9], v[4:5]
	global_store_b64 v[2:3], v[4:5], off
	s_branch .LBB125_2
.LBB125_9:
	s_endpgm
	.section	.rodata,"a",@progbits
	.p2align	6, 0x0
	.amdhsa_kernel _ZL22rocblas_sscal_2_kernelILi256EdddPdEviT2_lT3_lli
		.amdhsa_group_segment_fixed_size 0
		.amdhsa_private_segment_fixed_size 0
		.amdhsa_kernarg_size 52
		.amdhsa_user_sgpr_count 2
		.amdhsa_user_sgpr_dispatch_ptr 0
		.amdhsa_user_sgpr_queue_ptr 0
		.amdhsa_user_sgpr_kernarg_segment_ptr 1
		.amdhsa_user_sgpr_dispatch_id 0
		.amdhsa_user_sgpr_kernarg_preload_length 0
		.amdhsa_user_sgpr_kernarg_preload_offset 0
		.amdhsa_user_sgpr_private_segment_size 0
		.amdhsa_wavefront_size32 1
		.amdhsa_uses_dynamic_stack 0
		.amdhsa_enable_private_segment 0
		.amdhsa_system_sgpr_workgroup_id_x 1
		.amdhsa_system_sgpr_workgroup_id_y 0
		.amdhsa_system_sgpr_workgroup_id_z 1
		.amdhsa_system_sgpr_workgroup_info 0
		.amdhsa_system_vgpr_workitem_id 0
		.amdhsa_next_free_vgpr 8
		.amdhsa_next_free_sgpr 16
		.amdhsa_named_barrier_count 0
		.amdhsa_reserve_vcc 1
		.amdhsa_float_round_mode_32 0
		.amdhsa_float_round_mode_16_64 0
		.amdhsa_float_denorm_mode_32 3
		.amdhsa_float_denorm_mode_16_64 3
		.amdhsa_fp16_overflow 0
		.amdhsa_memory_ordered 1
		.amdhsa_forward_progress 1
		.amdhsa_inst_pref_size 3
		.amdhsa_round_robin_scheduling 0
		.amdhsa_exception_fp_ieee_invalid_op 0
		.amdhsa_exception_fp_denorm_src 0
		.amdhsa_exception_fp_ieee_div_zero 0
		.amdhsa_exception_fp_ieee_overflow 0
		.amdhsa_exception_fp_ieee_underflow 0
		.amdhsa_exception_fp_ieee_inexact 0
		.amdhsa_exception_int_div_zero 0
	.end_amdhsa_kernel
	.section	.text._ZL22rocblas_sscal_2_kernelILi256EdddPdEviT2_lT3_lli,"axG",@progbits,_ZL22rocblas_sscal_2_kernelILi256EdddPdEviT2_lT3_lli,comdat
.Lfunc_end125:
	.size	_ZL22rocblas_sscal_2_kernelILi256EdddPdEviT2_lT3_lli, .Lfunc_end125-_ZL22rocblas_sscal_2_kernelILi256EdddPdEviT2_lT3_lli
                                        ; -- End function
	.set _ZL22rocblas_sscal_2_kernelILi256EdddPdEviT2_lT3_lli.num_vgpr, 8
	.set _ZL22rocblas_sscal_2_kernelILi256EdddPdEviT2_lT3_lli.num_agpr, 0
	.set _ZL22rocblas_sscal_2_kernelILi256EdddPdEviT2_lT3_lli.numbered_sgpr, 16
	.set _ZL22rocblas_sscal_2_kernelILi256EdddPdEviT2_lT3_lli.num_named_barrier, 0
	.set _ZL22rocblas_sscal_2_kernelILi256EdddPdEviT2_lT3_lli.private_seg_size, 0
	.set _ZL22rocblas_sscal_2_kernelILi256EdddPdEviT2_lT3_lli.uses_vcc, 1
	.set _ZL22rocblas_sscal_2_kernelILi256EdddPdEviT2_lT3_lli.uses_flat_scratch, 0
	.set _ZL22rocblas_sscal_2_kernelILi256EdddPdEviT2_lT3_lli.has_dyn_sized_stack, 0
	.set _ZL22rocblas_sscal_2_kernelILi256EdddPdEviT2_lT3_lli.has_recursion, 0
	.set _ZL22rocblas_sscal_2_kernelILi256EdddPdEviT2_lT3_lli.has_indirect_call, 0
	.section	.AMDGPU.csdata,"",@progbits
; Kernel info:
; codeLenInByte = 384
; TotalNumSgprs: 18
; NumVgprs: 8
; ScratchSize: 0
; MemoryBound: 0
; FloatMode: 240
; IeeeMode: 1
; LDSByteSize: 0 bytes/workgroup (compile time only)
; SGPRBlocks: 0
; VGPRBlocks: 0
; NumSGPRsForWavesPerEU: 18
; NumVGPRsForWavesPerEU: 8
; NamedBarCnt: 0
; Occupancy: 16
; WaveLimiterHint : 0
; COMPUTE_PGM_RSRC2:SCRATCH_EN: 0
; COMPUTE_PGM_RSRC2:USER_SGPR: 2
; COMPUTE_PGM_RSRC2:TRAP_HANDLER: 0
; COMPUTE_PGM_RSRC2:TGID_X_EN: 1
; COMPUTE_PGM_RSRC2:TGID_Y_EN: 0
; COMPUTE_PGM_RSRC2:TGID_Z_EN: 1
; COMPUTE_PGM_RSRC2:TIDIG_COMP_CNT: 0
	.section	.text._ZL19rocblas_scal_kernelIiLi256EddPKdPdEviT3_lT4_lT_li,"axG",@progbits,_ZL19rocblas_scal_kernelIiLi256EddPKdPdEviT3_lT4_lT_li,comdat
	.globl	_ZL19rocblas_scal_kernelIiLi256EddPKdPdEviT3_lT4_lT_li ; -- Begin function _ZL19rocblas_scal_kernelIiLi256EddPKdPdEviT3_lT4_lT_li
	.p2align	8
	.type	_ZL19rocblas_scal_kernelIiLi256EddPKdPdEviT3_lT4_lT_li,@function
_ZL19rocblas_scal_kernelIiLi256EddPKdPdEviT3_lT4_lT_li: ; @_ZL19rocblas_scal_kernelIiLi256EddPKdPdEviT3_lT4_lT_li
; %bb.0:
	s_load_b32 s14, s[0:1], 0x38
	s_bfe_u32 s2, ttmp6, 0x40014
	s_lshr_b32 s3, ttmp7, 16
	s_add_co_i32 s2, s2, 1
	s_bfe_u32 s4, ttmp6, 0x40008
	s_mul_i32 s2, s3, s2
	s_getreg_b32 s15, hwreg(HW_REG_IB_STS2, 6, 4)
	s_add_co_i32 s4, s4, s2
	s_cmp_eq_u32 s15, 0
	s_cselect_b32 s2, s3, s4
	s_mov_b32 s3, 0
	s_wait_kmcnt 0x0
	s_cmp_ge_u32 s2, s14
	s_cbranch_scc1 .LBB126_5
; %bb.1:
	s_clause 0x1
	s_load_b32 s16, s[0:1], 0x28
	s_load_b256 s[4:11], s[0:1], 0x8
	s_bfe_u32 s12, ttmp6, 0x4000c
	s_and_b32 s17, ttmp6, 15
	s_add_co_i32 s12, s12, 1
	v_mov_b32_e32 v1, 0
	s_mul_i32 s18, ttmp9, s12
	s_load_b64 s[12:13], s[0:1], 0x30
	s_add_co_i32 s18, s17, s18
	s_wait_kmcnt 0x0
	s_ashr_i32 s17, s16, 31
	s_lshl_b64 s[10:11], s[10:11], 3
	s_cmp_eq_u32 s15, 0
	s_cselect_b32 s15, ttmp9, s18
	s_delay_alu instid0(SALU_CYCLE_1) | instskip(SKIP_3) | instid1(VALU_DEP_1)
	v_lshl_or_b32 v0, s15, 8, v0
	s_load_b32 s15, s[0:1], 0x0
	s_wait_xcnt 0x0
	s_add_nc_u64 s[0:1], s[8:9], s[10:11]
	v_mul_u64_e32 v[2:3], s[16:17], v[0:1]
	s_wait_kmcnt 0x0
	v_cmp_gt_u32_e32 vcc_lo, s15, v0
	s_delay_alu instid0(VALU_DEP_2)
	v_lshl_add_u64 v[2:3], v[2:3], 3, s[0:1]
	s_branch .LBB126_3
.LBB126_2:                              ;   in Loop: Header=BB126_3 Depth=1
	s_wait_xcnt 0x0
	s_or_b32 exec_lo, exec_lo, s0
	s_add_co_i32 s2, s2, 0x10000
	s_delay_alu instid0(SALU_CYCLE_1)
	s_cmp_lt_u32 s2, s14
	s_cbranch_scc0 .LBB126_5
.LBB126_3:                              ; =>This Inner Loop Header: Depth=1
	s_mul_u64 s[0:1], s[6:7], s[2:3]
	s_delay_alu instid0(SALU_CYCLE_1) | instskip(NEXT) | instid1(SALU_CYCLE_1)
	s_lshl_b64 s[0:1], s[0:1], 3
	s_add_nc_u64 s[0:1], s[4:5], s[0:1]
	global_load_b64 v[4:5], v1, s[0:1]
	s_wait_loadcnt 0x0
	s_wait_xcnt 0x0
	v_cmp_neq_f64_e64 s0, 1.0, v[4:5]
	s_and_b32 s1, vcc_lo, s0
	s_delay_alu instid0(SALU_CYCLE_1)
	s_and_saveexec_b32 s0, s1
	s_cbranch_execz .LBB126_2
; %bb.4:                                ;   in Loop: Header=BB126_3 Depth=1
	s_mul_u64 s[8:9], s[12:13], s[2:3]
	s_delay_alu instid0(SALU_CYCLE_1)
	v_lshl_add_u64 v[6:7], s[8:9], 3, v[2:3]
	global_load_b64 v[8:9], v[6:7], off
	s_wait_loadcnt 0x0
	v_mul_f64_e32 v[4:5], v[4:5], v[8:9]
	global_store_b64 v[6:7], v[4:5], off
	s_branch .LBB126_2
.LBB126_5:
	s_endpgm
	.section	.rodata,"a",@progbits
	.p2align	6, 0x0
	.amdhsa_kernel _ZL19rocblas_scal_kernelIiLi256EddPKdPdEviT3_lT4_lT_li
		.amdhsa_group_segment_fixed_size 0
		.amdhsa_private_segment_fixed_size 0
		.amdhsa_kernarg_size 60
		.amdhsa_user_sgpr_count 2
		.amdhsa_user_sgpr_dispatch_ptr 0
		.amdhsa_user_sgpr_queue_ptr 0
		.amdhsa_user_sgpr_kernarg_segment_ptr 1
		.amdhsa_user_sgpr_dispatch_id 0
		.amdhsa_user_sgpr_kernarg_preload_length 0
		.amdhsa_user_sgpr_kernarg_preload_offset 0
		.amdhsa_user_sgpr_private_segment_size 0
		.amdhsa_wavefront_size32 1
		.amdhsa_uses_dynamic_stack 0
		.amdhsa_enable_private_segment 0
		.amdhsa_system_sgpr_workgroup_id_x 1
		.amdhsa_system_sgpr_workgroup_id_y 0
		.amdhsa_system_sgpr_workgroup_id_z 1
		.amdhsa_system_sgpr_workgroup_info 0
		.amdhsa_system_vgpr_workitem_id 0
		.amdhsa_next_free_vgpr 10
		.amdhsa_next_free_sgpr 19
		.amdhsa_named_barrier_count 0
		.amdhsa_reserve_vcc 1
		.amdhsa_float_round_mode_32 0
		.amdhsa_float_round_mode_16_64 0
		.amdhsa_float_denorm_mode_32 3
		.amdhsa_float_denorm_mode_16_64 3
		.amdhsa_fp16_overflow 0
		.amdhsa_memory_ordered 1
		.amdhsa_forward_progress 1
		.amdhsa_inst_pref_size 3
		.amdhsa_round_robin_scheduling 0
		.amdhsa_exception_fp_ieee_invalid_op 0
		.amdhsa_exception_fp_denorm_src 0
		.amdhsa_exception_fp_ieee_div_zero 0
		.amdhsa_exception_fp_ieee_overflow 0
		.amdhsa_exception_fp_ieee_underflow 0
		.amdhsa_exception_fp_ieee_inexact 0
		.amdhsa_exception_int_div_zero 0
	.end_amdhsa_kernel
	.section	.text._ZL19rocblas_scal_kernelIiLi256EddPKdPdEviT3_lT4_lT_li,"axG",@progbits,_ZL19rocblas_scal_kernelIiLi256EddPKdPdEviT3_lT4_lT_li,comdat
.Lfunc_end126:
	.size	_ZL19rocblas_scal_kernelIiLi256EddPKdPdEviT3_lT4_lT_li, .Lfunc_end126-_ZL19rocblas_scal_kernelIiLi256EddPKdPdEviT3_lT4_lT_li
                                        ; -- End function
	.set _ZL19rocblas_scal_kernelIiLi256EddPKdPdEviT3_lT4_lT_li.num_vgpr, 10
	.set _ZL19rocblas_scal_kernelIiLi256EddPKdPdEviT3_lT4_lT_li.num_agpr, 0
	.set _ZL19rocblas_scal_kernelIiLi256EddPKdPdEviT3_lT4_lT_li.numbered_sgpr, 19
	.set _ZL19rocblas_scal_kernelIiLi256EddPKdPdEviT3_lT4_lT_li.num_named_barrier, 0
	.set _ZL19rocblas_scal_kernelIiLi256EddPKdPdEviT3_lT4_lT_li.private_seg_size, 0
	.set _ZL19rocblas_scal_kernelIiLi256EddPKdPdEviT3_lT4_lT_li.uses_vcc, 1
	.set _ZL19rocblas_scal_kernelIiLi256EddPKdPdEviT3_lT4_lT_li.uses_flat_scratch, 0
	.set _ZL19rocblas_scal_kernelIiLi256EddPKdPdEviT3_lT4_lT_li.has_dyn_sized_stack, 0
	.set _ZL19rocblas_scal_kernelIiLi256EddPKdPdEviT3_lT4_lT_li.has_recursion, 0
	.set _ZL19rocblas_scal_kernelIiLi256EddPKdPdEviT3_lT4_lT_li.has_indirect_call, 0
	.section	.AMDGPU.csdata,"",@progbits
; Kernel info:
; codeLenInByte = 344
; TotalNumSgprs: 21
; NumVgprs: 10
; ScratchSize: 0
; MemoryBound: 0
; FloatMode: 240
; IeeeMode: 1
; LDSByteSize: 0 bytes/workgroup (compile time only)
; SGPRBlocks: 0
; VGPRBlocks: 0
; NumSGPRsForWavesPerEU: 21
; NumVGPRsForWavesPerEU: 10
; NamedBarCnt: 0
; Occupancy: 16
; WaveLimiterHint : 0
; COMPUTE_PGM_RSRC2:SCRATCH_EN: 0
; COMPUTE_PGM_RSRC2:USER_SGPR: 2
; COMPUTE_PGM_RSRC2:TRAP_HANDLER: 0
; COMPUTE_PGM_RSRC2:TGID_X_EN: 1
; COMPUTE_PGM_RSRC2:TGID_Y_EN: 0
; COMPUTE_PGM_RSRC2:TGID_Z_EN: 1
; COMPUTE_PGM_RSRC2:TIDIG_COMP_CNT: 0
	.section	.text._ZL19rocblas_scal_kernelIiLi256EdddPdEviT3_lT4_lT_li,"axG",@progbits,_ZL19rocblas_scal_kernelIiLi256EdddPdEviT3_lT4_lT_li,comdat
	.globl	_ZL19rocblas_scal_kernelIiLi256EdddPdEviT3_lT4_lT_li ; -- Begin function _ZL19rocblas_scal_kernelIiLi256EdddPdEviT3_lT4_lT_li
	.p2align	8
	.type	_ZL19rocblas_scal_kernelIiLi256EdddPdEviT3_lT4_lT_li,@function
_ZL19rocblas_scal_kernelIiLi256EdddPdEviT3_lT4_lT_li: ; @_ZL19rocblas_scal_kernelIiLi256EdddPdEviT3_lT4_lT_li
; %bb.0:
	s_load_b32 s8, s[0:1], 0x38
	s_bfe_u32 s2, ttmp6, 0x40014
	s_lshr_b32 s3, ttmp7, 16
	s_add_co_i32 s2, s2, 1
	s_bfe_u32 s4, ttmp6, 0x40008
	s_mul_i32 s2, s3, s2
	s_getreg_b32 s6, hwreg(HW_REG_IB_STS2, 6, 4)
	s_add_co_i32 s4, s4, s2
	s_cmp_eq_u32 s6, 0
	s_cselect_b32 s2, s3, s4
	s_mov_b32 s3, 0
	s_wait_kmcnt 0x0
	s_cmp_ge_u32 s2, s8
	s_cbranch_scc1 .LBB127_5
; %bb.1:
	s_clause 0x2
	s_load_b32 s10, s[0:1], 0x28
	s_load_b128 s[12:15], s[0:1], 0x18
	s_load_b64 s[4:5], s[0:1], 0x8
	s_bfe_u32 s7, ttmp6, 0x4000c
	s_and_b32 s9, ttmp6, 15
	s_add_co_i32 s7, s7, 1
	v_mov_b32_e32 v1, 0
	s_mul_i32 s7, ttmp9, s7
	s_delay_alu instid0(SALU_CYCLE_1)
	s_add_co_i32 s9, s9, s7
	s_wait_kmcnt 0x0
	s_ashr_i32 s11, s10, 31
	s_lshl_b64 s[14:15], s[14:15], 3
	s_cmp_eq_u32 s6, 0
	s_cselect_b32 s6, ttmp9, s9
	v_cmp_neq_f64_e64 s9, s[4:5], 1.0
	v_lshl_or_b32 v0, s6, 8, v0
	s_delay_alu instid0(VALU_DEP_1)
	v_mul_u64_e32 v[2:3], s[10:11], v[0:1]
	s_clause 0x1
	s_load_b32 s10, s[0:1], 0x0
	s_load_b64 s[6:7], s[0:1], 0x30
	s_wait_xcnt 0x0
	s_add_nc_u64 s[0:1], s[12:13], s[14:15]
	s_wait_kmcnt 0x0
	v_cmp_gt_u32_e32 vcc_lo, s10, v0
	s_delay_alu instid0(VALU_DEP_2)
	v_lshl_add_u64 v[0:1], v[2:3], 3, s[0:1]
	s_and_b32 s0, vcc_lo, s9
	s_branch .LBB127_3
.LBB127_2:                              ;   in Loop: Header=BB127_3 Depth=1
	s_wait_xcnt 0x0
	s_or_b32 exec_lo, exec_lo, s1
	s_add_co_i32 s2, s2, 0x10000
	s_delay_alu instid0(SALU_CYCLE_1)
	s_cmp_lt_u32 s2, s8
	s_cbranch_scc0 .LBB127_5
.LBB127_3:                              ; =>This Inner Loop Header: Depth=1
	s_and_saveexec_b32 s1, s0
	s_cbranch_execz .LBB127_2
; %bb.4:                                ;   in Loop: Header=BB127_3 Depth=1
	s_mul_u64 s[10:11], s[6:7], s[2:3]
	s_delay_alu instid0(SALU_CYCLE_1)
	v_lshl_add_u64 v[2:3], s[10:11], 3, v[0:1]
	global_load_b64 v[4:5], v[2:3], off
	s_wait_loadcnt 0x0
	v_mul_f64_e32 v[4:5], s[4:5], v[4:5]
	global_store_b64 v[2:3], v[4:5], off
	s_branch .LBB127_2
.LBB127_5:
	s_endpgm
	.section	.rodata,"a",@progbits
	.p2align	6, 0x0
	.amdhsa_kernel _ZL19rocblas_scal_kernelIiLi256EdddPdEviT3_lT4_lT_li
		.amdhsa_group_segment_fixed_size 0
		.amdhsa_private_segment_fixed_size 0
		.amdhsa_kernarg_size 60
		.amdhsa_user_sgpr_count 2
		.amdhsa_user_sgpr_dispatch_ptr 0
		.amdhsa_user_sgpr_queue_ptr 0
		.amdhsa_user_sgpr_kernarg_segment_ptr 1
		.amdhsa_user_sgpr_dispatch_id 0
		.amdhsa_user_sgpr_kernarg_preload_length 0
		.amdhsa_user_sgpr_kernarg_preload_offset 0
		.amdhsa_user_sgpr_private_segment_size 0
		.amdhsa_wavefront_size32 1
		.amdhsa_uses_dynamic_stack 0
		.amdhsa_enable_private_segment 0
		.amdhsa_system_sgpr_workgroup_id_x 1
		.amdhsa_system_sgpr_workgroup_id_y 0
		.amdhsa_system_sgpr_workgroup_id_z 1
		.amdhsa_system_sgpr_workgroup_info 0
		.amdhsa_system_vgpr_workitem_id 0
		.amdhsa_next_free_vgpr 6
		.amdhsa_next_free_sgpr 16
		.amdhsa_named_barrier_count 0
		.amdhsa_reserve_vcc 1
		.amdhsa_float_round_mode_32 0
		.amdhsa_float_round_mode_16_64 0
		.amdhsa_float_denorm_mode_32 3
		.amdhsa_float_denorm_mode_16_64 3
		.amdhsa_fp16_overflow 0
		.amdhsa_memory_ordered 1
		.amdhsa_forward_progress 1
		.amdhsa_inst_pref_size 3
		.amdhsa_round_robin_scheduling 0
		.amdhsa_exception_fp_ieee_invalid_op 0
		.amdhsa_exception_fp_denorm_src 0
		.amdhsa_exception_fp_ieee_div_zero 0
		.amdhsa_exception_fp_ieee_overflow 0
		.amdhsa_exception_fp_ieee_underflow 0
		.amdhsa_exception_fp_ieee_inexact 0
		.amdhsa_exception_int_div_zero 0
	.end_amdhsa_kernel
	.section	.text._ZL19rocblas_scal_kernelIiLi256EdddPdEviT3_lT4_lT_li,"axG",@progbits,_ZL19rocblas_scal_kernelIiLi256EdddPdEviT3_lT4_lT_li,comdat
.Lfunc_end127:
	.size	_ZL19rocblas_scal_kernelIiLi256EdddPdEviT3_lT4_lT_li, .Lfunc_end127-_ZL19rocblas_scal_kernelIiLi256EdddPdEviT3_lT4_lT_li
                                        ; -- End function
	.set _ZL19rocblas_scal_kernelIiLi256EdddPdEviT3_lT4_lT_li.num_vgpr, 6
	.set _ZL19rocblas_scal_kernelIiLi256EdddPdEviT3_lT4_lT_li.num_agpr, 0
	.set _ZL19rocblas_scal_kernelIiLi256EdddPdEviT3_lT4_lT_li.numbered_sgpr, 16
	.set _ZL19rocblas_scal_kernelIiLi256EdddPdEviT3_lT4_lT_li.num_named_barrier, 0
	.set _ZL19rocblas_scal_kernelIiLi256EdddPdEviT3_lT4_lT_li.private_seg_size, 0
	.set _ZL19rocblas_scal_kernelIiLi256EdddPdEviT3_lT4_lT_li.uses_vcc, 1
	.set _ZL19rocblas_scal_kernelIiLi256EdddPdEviT3_lT4_lT_li.uses_flat_scratch, 0
	.set _ZL19rocblas_scal_kernelIiLi256EdddPdEviT3_lT4_lT_li.has_dyn_sized_stack, 0
	.set _ZL19rocblas_scal_kernelIiLi256EdddPdEviT3_lT4_lT_li.has_recursion, 0
	.set _ZL19rocblas_scal_kernelIiLi256EdddPdEviT3_lT4_lT_li.has_indirect_call, 0
	.section	.AMDGPU.csdata,"",@progbits
; Kernel info:
; codeLenInByte = 320
; TotalNumSgprs: 18
; NumVgprs: 6
; ScratchSize: 0
; MemoryBound: 0
; FloatMode: 240
; IeeeMode: 1
; LDSByteSize: 0 bytes/workgroup (compile time only)
; SGPRBlocks: 0
; VGPRBlocks: 0
; NumSGPRsForWavesPerEU: 18
; NumVGPRsForWavesPerEU: 6
; NamedBarCnt: 0
; Occupancy: 16
; WaveLimiterHint : 0
; COMPUTE_PGM_RSRC2:SCRATCH_EN: 0
; COMPUTE_PGM_RSRC2:USER_SGPR: 2
; COMPUTE_PGM_RSRC2:TRAP_HANDLER: 0
; COMPUTE_PGM_RSRC2:TGID_X_EN: 1
; COMPUTE_PGM_RSRC2:TGID_Y_EN: 0
; COMPUTE_PGM_RSRC2:TGID_Z_EN: 1
; COMPUTE_PGM_RSRC2:TIDIG_COMP_CNT: 0
	.section	.text._ZL19rocblas_scal_kernelIlLi256EddPKdPdEviT3_lT4_lT_li,"axG",@progbits,_ZL19rocblas_scal_kernelIlLi256EddPKdPdEviT3_lT4_lT_li,comdat
	.globl	_ZL19rocblas_scal_kernelIlLi256EddPKdPdEviT3_lT4_lT_li ; -- Begin function _ZL19rocblas_scal_kernelIlLi256EddPKdPdEviT3_lT4_lT_li
	.p2align	8
	.type	_ZL19rocblas_scal_kernelIlLi256EddPKdPdEviT3_lT4_lT_li,@function
_ZL19rocblas_scal_kernelIlLi256EddPKdPdEviT3_lT4_lT_li: ; @_ZL19rocblas_scal_kernelIlLi256EddPKdPdEviT3_lT4_lT_li
; %bb.0:
	s_load_b32 s16, s[0:1], 0x38
	s_bfe_u32 s2, ttmp6, 0x40014
	s_lshr_b32 s3, ttmp7, 16
	s_add_co_i32 s2, s2, 1
	s_bfe_u32 s4, ttmp6, 0x40008
	s_mul_i32 s2, s3, s2
	s_getreg_b32 s17, hwreg(HW_REG_IB_STS2, 6, 4)
	s_add_co_i32 s4, s4, s2
	s_cmp_eq_u32 s17, 0
	s_cselect_b32 s2, s3, s4
	s_mov_b32 s3, 0
	s_wait_kmcnt 0x0
	s_cmp_ge_u32 s2, s16
	s_cbranch_scc1 .LBB128_5
; %bb.1:
	s_clause 0x1
	s_load_b256 s[4:11], s[0:1], 0x8
	s_load_b128 s[12:15], s[0:1], 0x28
	s_bfe_u32 s18, ttmp6, 0x4000c
	s_and_b32 s19, ttmp6, 15
	s_add_co_i32 s18, s18, 1
	v_mov_b32_e32 v1, 0
	s_mul_i32 s18, ttmp9, s18
	s_delay_alu instid0(SALU_CYCLE_1) | instskip(SKIP_4) | instid1(SALU_CYCLE_1)
	s_add_co_i32 s19, s19, s18
	s_wait_kmcnt 0x0
	s_lshl_b64 s[10:11], s[10:11], 3
	s_cmp_eq_u32 s17, 0
	s_cselect_b32 s17, ttmp9, s19
	v_lshl_or_b32 v0, s17, 8, v0
	s_delay_alu instid0(VALU_DEP_1)
	v_mul_u64_e32 v[2:3], s[12:13], v[0:1]
	s_load_b32 s12, s[0:1], 0x0
	s_wait_xcnt 0x0
	s_add_nc_u64 s[0:1], s[8:9], s[10:11]
	s_wait_kmcnt 0x0
	v_cmp_gt_u32_e32 vcc_lo, s12, v0
	s_delay_alu instid0(VALU_DEP_2)
	v_lshl_add_u64 v[2:3], v[2:3], 3, s[0:1]
	s_branch .LBB128_3
.LBB128_2:                              ;   in Loop: Header=BB128_3 Depth=1
	s_wait_xcnt 0x0
	s_or_b32 exec_lo, exec_lo, s0
	s_add_co_i32 s2, s2, 0x10000
	s_delay_alu instid0(SALU_CYCLE_1)
	s_cmp_lt_u32 s2, s16
	s_cbranch_scc0 .LBB128_5
.LBB128_3:                              ; =>This Inner Loop Header: Depth=1
	s_mul_u64 s[0:1], s[6:7], s[2:3]
	s_delay_alu instid0(SALU_CYCLE_1) | instskip(NEXT) | instid1(SALU_CYCLE_1)
	s_lshl_b64 s[0:1], s[0:1], 3
	s_add_nc_u64 s[0:1], s[4:5], s[0:1]
	global_load_b64 v[4:5], v1, s[0:1]
	s_wait_loadcnt 0x0
	s_wait_xcnt 0x0
	v_cmp_neq_f64_e64 s0, 1.0, v[4:5]
	s_and_b32 s1, vcc_lo, s0
	s_delay_alu instid0(SALU_CYCLE_1)
	s_and_saveexec_b32 s0, s1
	s_cbranch_execz .LBB128_2
; %bb.4:                                ;   in Loop: Header=BB128_3 Depth=1
	s_mul_u64 s[8:9], s[14:15], s[2:3]
	s_delay_alu instid0(SALU_CYCLE_1)
	v_lshl_add_u64 v[6:7], s[8:9], 3, v[2:3]
	global_load_b64 v[8:9], v[6:7], off
	s_wait_loadcnt 0x0
	v_mul_f64_e32 v[4:5], v[4:5], v[8:9]
	global_store_b64 v[6:7], v[4:5], off
	s_branch .LBB128_2
.LBB128_5:
	s_endpgm
	.section	.rodata,"a",@progbits
	.p2align	6, 0x0
	.amdhsa_kernel _ZL19rocblas_scal_kernelIlLi256EddPKdPdEviT3_lT4_lT_li
		.amdhsa_group_segment_fixed_size 0
		.amdhsa_private_segment_fixed_size 0
		.amdhsa_kernarg_size 60
		.amdhsa_user_sgpr_count 2
		.amdhsa_user_sgpr_dispatch_ptr 0
		.amdhsa_user_sgpr_queue_ptr 0
		.amdhsa_user_sgpr_kernarg_segment_ptr 1
		.amdhsa_user_sgpr_dispatch_id 0
		.amdhsa_user_sgpr_kernarg_preload_length 0
		.amdhsa_user_sgpr_kernarg_preload_offset 0
		.amdhsa_user_sgpr_private_segment_size 0
		.amdhsa_wavefront_size32 1
		.amdhsa_uses_dynamic_stack 0
		.amdhsa_enable_private_segment 0
		.amdhsa_system_sgpr_workgroup_id_x 1
		.amdhsa_system_sgpr_workgroup_id_y 0
		.amdhsa_system_sgpr_workgroup_id_z 1
		.amdhsa_system_sgpr_workgroup_info 0
		.amdhsa_system_vgpr_workitem_id 0
		.amdhsa_next_free_vgpr 10
		.amdhsa_next_free_sgpr 20
		.amdhsa_named_barrier_count 0
		.amdhsa_reserve_vcc 1
		.amdhsa_float_round_mode_32 0
		.amdhsa_float_round_mode_16_64 0
		.amdhsa_float_denorm_mode_32 3
		.amdhsa_float_denorm_mode_16_64 3
		.amdhsa_fp16_overflow 0
		.amdhsa_memory_ordered 1
		.amdhsa_forward_progress 1
		.amdhsa_inst_pref_size 3
		.amdhsa_round_robin_scheduling 0
		.amdhsa_exception_fp_ieee_invalid_op 0
		.amdhsa_exception_fp_denorm_src 0
		.amdhsa_exception_fp_ieee_div_zero 0
		.amdhsa_exception_fp_ieee_overflow 0
		.amdhsa_exception_fp_ieee_underflow 0
		.amdhsa_exception_fp_ieee_inexact 0
		.amdhsa_exception_int_div_zero 0
	.end_amdhsa_kernel
	.section	.text._ZL19rocblas_scal_kernelIlLi256EddPKdPdEviT3_lT4_lT_li,"axG",@progbits,_ZL19rocblas_scal_kernelIlLi256EddPKdPdEviT3_lT4_lT_li,comdat
.Lfunc_end128:
	.size	_ZL19rocblas_scal_kernelIlLi256EddPKdPdEviT3_lT4_lT_li, .Lfunc_end128-_ZL19rocblas_scal_kernelIlLi256EddPKdPdEviT3_lT4_lT_li
                                        ; -- End function
	.set _ZL19rocblas_scal_kernelIlLi256EddPKdPdEviT3_lT4_lT_li.num_vgpr, 10
	.set _ZL19rocblas_scal_kernelIlLi256EddPKdPdEviT3_lT4_lT_li.num_agpr, 0
	.set _ZL19rocblas_scal_kernelIlLi256EddPKdPdEviT3_lT4_lT_li.numbered_sgpr, 20
	.set _ZL19rocblas_scal_kernelIlLi256EddPKdPdEviT3_lT4_lT_li.num_named_barrier, 0
	.set _ZL19rocblas_scal_kernelIlLi256EddPKdPdEviT3_lT4_lT_li.private_seg_size, 0
	.set _ZL19rocblas_scal_kernelIlLi256EddPKdPdEviT3_lT4_lT_li.uses_vcc, 1
	.set _ZL19rocblas_scal_kernelIlLi256EddPKdPdEviT3_lT4_lT_li.uses_flat_scratch, 0
	.set _ZL19rocblas_scal_kernelIlLi256EddPKdPdEviT3_lT4_lT_li.has_dyn_sized_stack, 0
	.set _ZL19rocblas_scal_kernelIlLi256EddPKdPdEviT3_lT4_lT_li.has_recursion, 0
	.set _ZL19rocblas_scal_kernelIlLi256EddPKdPdEviT3_lT4_lT_li.has_indirect_call, 0
	.section	.AMDGPU.csdata,"",@progbits
; Kernel info:
; codeLenInByte = 336
; TotalNumSgprs: 22
; NumVgprs: 10
; ScratchSize: 0
; MemoryBound: 0
; FloatMode: 240
; IeeeMode: 1
; LDSByteSize: 0 bytes/workgroup (compile time only)
; SGPRBlocks: 0
; VGPRBlocks: 0
; NumSGPRsForWavesPerEU: 22
; NumVGPRsForWavesPerEU: 10
; NamedBarCnt: 0
; Occupancy: 16
; WaveLimiterHint : 0
; COMPUTE_PGM_RSRC2:SCRATCH_EN: 0
; COMPUTE_PGM_RSRC2:USER_SGPR: 2
; COMPUTE_PGM_RSRC2:TRAP_HANDLER: 0
; COMPUTE_PGM_RSRC2:TGID_X_EN: 1
; COMPUTE_PGM_RSRC2:TGID_Y_EN: 0
; COMPUTE_PGM_RSRC2:TGID_Z_EN: 1
; COMPUTE_PGM_RSRC2:TIDIG_COMP_CNT: 0
	.section	.text._ZL19rocblas_scal_kernelIlLi256EdddPdEviT3_lT4_lT_li,"axG",@progbits,_ZL19rocblas_scal_kernelIlLi256EdddPdEviT3_lT4_lT_li,comdat
	.globl	_ZL19rocblas_scal_kernelIlLi256EdddPdEviT3_lT4_lT_li ; -- Begin function _ZL19rocblas_scal_kernelIlLi256EdddPdEviT3_lT4_lT_li
	.p2align	8
	.type	_ZL19rocblas_scal_kernelIlLi256EdddPdEviT3_lT4_lT_li,@function
_ZL19rocblas_scal_kernelIlLi256EdddPdEviT3_lT4_lT_li: ; @_ZL19rocblas_scal_kernelIlLi256EdddPdEviT3_lT4_lT_li
; %bb.0:
	s_load_b32 s14, s[0:1], 0x38
	s_bfe_u32 s2, ttmp6, 0x40014
	s_lshr_b32 s3, ttmp7, 16
	s_add_co_i32 s2, s2, 1
	s_bfe_u32 s4, ttmp6, 0x40008
	s_mul_i32 s2, s3, s2
	s_getreg_b32 s15, hwreg(HW_REG_IB_STS2, 6, 4)
	s_add_co_i32 s4, s4, s2
	s_cmp_eq_u32 s15, 0
	s_cselect_b32 s2, s3, s4
	s_mov_b32 s3, 0
	s_wait_kmcnt 0x0
	s_cmp_ge_u32 s2, s14
	s_cbranch_scc1 .LBB129_5
; %bb.1:
	s_clause 0x1
	s_load_b256 s[4:11], s[0:1], 0x18
	s_load_b64 s[12:13], s[0:1], 0x8
	s_bfe_u32 s16, ttmp6, 0x4000c
	s_and_b32 s17, ttmp6, 15
	s_add_co_i32 s16, s16, 1
	v_mov_b32_e32 v1, 0
	s_mul_i32 s16, ttmp9, s16
	s_delay_alu instid0(SALU_CYCLE_1) | instskip(SKIP_4) | instid1(SALU_CYCLE_1)
	s_add_co_i32 s17, s17, s16
	s_wait_kmcnt 0x0
	s_lshl_b64 s[6:7], s[6:7], 3
	s_cmp_eq_u32 s15, 0
	s_cselect_b32 s15, ttmp9, s17
	v_lshl_or_b32 v0, s15, 8, v0
	s_delay_alu instid0(VALU_DEP_1)
	v_mul_u64_e32 v[2:3], s[8:9], v[0:1]
	s_load_b32 s9, s[0:1], 0x0
	v_cmp_neq_f64_e64 s8, s[12:13], 1.0
	s_wait_xcnt 0x0
	s_add_nc_u64 s[0:1], s[4:5], s[6:7]
	s_wait_kmcnt 0x0
	v_cmp_gt_u32_e32 vcc_lo, s9, v0
	v_lshl_add_u64 v[0:1], v[2:3], 3, s[0:1]
	s_and_b32 s0, vcc_lo, s8
	s_branch .LBB129_3
.LBB129_2:                              ;   in Loop: Header=BB129_3 Depth=1
	s_wait_xcnt 0x0
	s_or_b32 exec_lo, exec_lo, s1
	s_add_co_i32 s2, s2, 0x10000
	s_delay_alu instid0(SALU_CYCLE_1)
	s_cmp_lt_u32 s2, s14
	s_cbranch_scc0 .LBB129_5
.LBB129_3:                              ; =>This Inner Loop Header: Depth=1
	s_and_saveexec_b32 s1, s0
	s_cbranch_execz .LBB129_2
; %bb.4:                                ;   in Loop: Header=BB129_3 Depth=1
	s_mul_u64 s[4:5], s[10:11], s[2:3]
	s_delay_alu instid0(SALU_CYCLE_1)
	v_lshl_add_u64 v[2:3], s[4:5], 3, v[0:1]
	global_load_b64 v[4:5], v[2:3], off
	s_wait_loadcnt 0x0
	v_mul_f64_e32 v[4:5], s[12:13], v[4:5]
	global_store_b64 v[2:3], v[4:5], off
	s_branch .LBB129_2
.LBB129_5:
	s_endpgm
	.section	.rodata,"a",@progbits
	.p2align	6, 0x0
	.amdhsa_kernel _ZL19rocblas_scal_kernelIlLi256EdddPdEviT3_lT4_lT_li
		.amdhsa_group_segment_fixed_size 0
		.amdhsa_private_segment_fixed_size 0
		.amdhsa_kernarg_size 60
		.amdhsa_user_sgpr_count 2
		.amdhsa_user_sgpr_dispatch_ptr 0
		.amdhsa_user_sgpr_queue_ptr 0
		.amdhsa_user_sgpr_kernarg_segment_ptr 1
		.amdhsa_user_sgpr_dispatch_id 0
		.amdhsa_user_sgpr_kernarg_preload_length 0
		.amdhsa_user_sgpr_kernarg_preload_offset 0
		.amdhsa_user_sgpr_private_segment_size 0
		.amdhsa_wavefront_size32 1
		.amdhsa_uses_dynamic_stack 0
		.amdhsa_enable_private_segment 0
		.amdhsa_system_sgpr_workgroup_id_x 1
		.amdhsa_system_sgpr_workgroup_id_y 0
		.amdhsa_system_sgpr_workgroup_id_z 1
		.amdhsa_system_sgpr_workgroup_info 0
		.amdhsa_system_vgpr_workitem_id 0
		.amdhsa_next_free_vgpr 6
		.amdhsa_next_free_sgpr 18
		.amdhsa_named_barrier_count 0
		.amdhsa_reserve_vcc 1
		.amdhsa_float_round_mode_32 0
		.amdhsa_float_round_mode_16_64 0
		.amdhsa_float_denorm_mode_32 3
		.amdhsa_float_denorm_mode_16_64 3
		.amdhsa_fp16_overflow 0
		.amdhsa_memory_ordered 1
		.amdhsa_forward_progress 1
		.amdhsa_inst_pref_size 3
		.amdhsa_round_robin_scheduling 0
		.amdhsa_exception_fp_ieee_invalid_op 0
		.amdhsa_exception_fp_denorm_src 0
		.amdhsa_exception_fp_ieee_div_zero 0
		.amdhsa_exception_fp_ieee_overflow 0
		.amdhsa_exception_fp_ieee_underflow 0
		.amdhsa_exception_fp_ieee_inexact 0
		.amdhsa_exception_int_div_zero 0
	.end_amdhsa_kernel
	.section	.text._ZL19rocblas_scal_kernelIlLi256EdddPdEviT3_lT4_lT_li,"axG",@progbits,_ZL19rocblas_scal_kernelIlLi256EdddPdEviT3_lT4_lT_li,comdat
.Lfunc_end129:
	.size	_ZL19rocblas_scal_kernelIlLi256EdddPdEviT3_lT4_lT_li, .Lfunc_end129-_ZL19rocblas_scal_kernelIlLi256EdddPdEviT3_lT4_lT_li
                                        ; -- End function
	.set _ZL19rocblas_scal_kernelIlLi256EdddPdEviT3_lT4_lT_li.num_vgpr, 6
	.set _ZL19rocblas_scal_kernelIlLi256EdddPdEviT3_lT4_lT_li.num_agpr, 0
	.set _ZL19rocblas_scal_kernelIlLi256EdddPdEviT3_lT4_lT_li.numbered_sgpr, 18
	.set _ZL19rocblas_scal_kernelIlLi256EdddPdEviT3_lT4_lT_li.num_named_barrier, 0
	.set _ZL19rocblas_scal_kernelIlLi256EdddPdEviT3_lT4_lT_li.private_seg_size, 0
	.set _ZL19rocblas_scal_kernelIlLi256EdddPdEviT3_lT4_lT_li.uses_vcc, 1
	.set _ZL19rocblas_scal_kernelIlLi256EdddPdEviT3_lT4_lT_li.uses_flat_scratch, 0
	.set _ZL19rocblas_scal_kernelIlLi256EdddPdEviT3_lT4_lT_li.has_dyn_sized_stack, 0
	.set _ZL19rocblas_scal_kernelIlLi256EdddPdEviT3_lT4_lT_li.has_recursion, 0
	.set _ZL19rocblas_scal_kernelIlLi256EdddPdEviT3_lT4_lT_li.has_indirect_call, 0
	.section	.AMDGPU.csdata,"",@progbits
; Kernel info:
; codeLenInByte = 292
; TotalNumSgprs: 20
; NumVgprs: 6
; ScratchSize: 0
; MemoryBound: 0
; FloatMode: 240
; IeeeMode: 1
; LDSByteSize: 0 bytes/workgroup (compile time only)
; SGPRBlocks: 0
; VGPRBlocks: 0
; NumSGPRsForWavesPerEU: 20
; NumVGPRsForWavesPerEU: 6
; NamedBarCnt: 0
; Occupancy: 16
; WaveLimiterHint : 0
; COMPUTE_PGM_RSRC2:SCRATCH_EN: 0
; COMPUTE_PGM_RSRC2:USER_SGPR: 2
; COMPUTE_PGM_RSRC2:TRAP_HANDLER: 0
; COMPUTE_PGM_RSRC2:TGID_X_EN: 1
; COMPUTE_PGM_RSRC2:TGID_Y_EN: 0
; COMPUTE_PGM_RSRC2:TGID_Z_EN: 1
; COMPUTE_PGM_RSRC2:TIDIG_COMP_CNT: 0
	.section	.text._ZL22rocblas_sscal_2_kernelILi256EddPKdPKPdEviT2_lT3_lli,"axG",@progbits,_ZL22rocblas_sscal_2_kernelILi256EddPKdPKPdEviT2_lT3_lli,comdat
	.globl	_ZL22rocblas_sscal_2_kernelILi256EddPKdPKPdEviT2_lT3_lli ; -- Begin function _ZL22rocblas_sscal_2_kernelILi256EddPKdPKPdEviT2_lT3_lli
	.p2align	8
	.type	_ZL22rocblas_sscal_2_kernelILi256EddPKdPKPdEviT2_lT3_lli,@function
_ZL22rocblas_sscal_2_kernelILi256EddPKdPKPdEviT2_lT3_lli: ; @_ZL22rocblas_sscal_2_kernelILi256EddPKdPKPdEviT2_lT3_lli
; %bb.0:
	s_load_b32 s12, s[0:1], 0x30
	s_bfe_u32 s2, ttmp6, 0x40014
	s_lshr_b32 s3, ttmp7, 16
	s_add_co_i32 s2, s2, 1
	s_bfe_u32 s4, ttmp6, 0x40008
	s_mul_i32 s2, s3, s2
	s_getreg_b32 s13, hwreg(HW_REG_IB_STS2, 6, 4)
	s_add_co_i32 s4, s4, s2
	s_cmp_eq_u32 s13, 0
	s_cselect_b32 s2, s3, s4
	s_mov_b32 s3, 0
	s_wait_kmcnt 0x0
	s_cmp_ge_u32 s2, s12
	s_cbranch_scc1 .LBB130_9
; %bb.1:
	s_load_b32 s14, s[0:1], 0x0
	s_bfe_u32 s15, ttmp6, 0x4000c
	s_load_b256 s[4:11], s[0:1], 0x8
	s_add_co_i32 s15, s15, 1
	s_wait_xcnt 0x0
	s_and_b32 s0, ttmp6, 15
	s_mul_i32 s1, ttmp9, s15
	v_dual_mov_b32 v1, 0 :: v_dual_lshlrev_b32 v0, 1, v0
	s_add_co_i32 s0, s0, s1
	s_cmp_eq_u32 s13, 0
	s_cselect_b32 s0, ttmp9, s0
	s_delay_alu instid0(VALU_DEP_1) | instid1(SALU_CYCLE_1)
	v_lshl_or_b32 v0, s0, 9, v0
	s_delay_alu instid0(VALU_DEP_1)
	v_or_b32_e32 v2, 1, v0
	s_wait_kmcnt 0x0
	s_bitcmp1_b32 s14, 0
	s_cselect_b32 s1, -1, 0
	s_add_co_i32 s0, s14, -1
	s_lshl_b64 s[10:11], s[10:11], 3
	v_cmp_eq_u32_e32 vcc_lo, s0, v0
	v_cmp_gt_u32_e64 s0, s14, v2
	s_and_b32 s1, s1, vcc_lo
	s_branch .LBB130_4
.LBB130_2:                              ;   in Loop: Header=BB130_4 Depth=1
	s_wait_xcnt 0x0
	s_or_b32 exec_lo, exec_lo, s13
.LBB130_3:                              ;   in Loop: Header=BB130_4 Depth=1
	s_add_co_i32 s2, s2, 0x10000
	s_delay_alu instid0(SALU_CYCLE_1)
	s_cmp_lt_u32 s2, s12
	s_cbranch_scc0 .LBB130_9
.LBB130_4:                              ; =>This Inner Loop Header: Depth=1
	s_wait_xcnt 0x0
	s_mul_u64 s[14:15], s[6:7], s[2:3]
	s_delay_alu instid0(SALU_CYCLE_1) | instskip(NEXT) | instid1(SALU_CYCLE_1)
	s_lshl_b64 s[14:15], s[14:15], 3
	s_add_nc_u64 s[14:15], s[4:5], s[14:15]
	global_load_b64 v[2:3], v1, s[14:15]
	s_wait_loadcnt 0x0
	v_cmp_eq_f64_e32 vcc_lo, 1.0, v[2:3]
	s_cbranch_vccnz .LBB130_3
; %bb.5:                                ;   in Loop: Header=BB130_4 Depth=1
	s_wait_xcnt 0x0
	s_lshl_b64 s[14:15], s[2:3], 3
	s_delay_alu instid0(SALU_CYCLE_1) | instskip(SKIP_4) | instid1(SALU_CYCLE_1)
	s_add_nc_u64 s[14:15], s[8:9], s[14:15]
	s_load_b64 s[14:15], s[14:15], 0x0
	s_wait_kmcnt 0x0
	s_wait_xcnt 0x0
	s_add_nc_u64 s[14:15], s[14:15], s[10:11]
	v_lshl_add_u64 v[4:5], v[0:1], 3, s[14:15]
	s_and_saveexec_b32 s13, s0
	s_cbranch_execz .LBB130_7
; %bb.6:                                ;   in Loop: Header=BB130_4 Depth=1
	flat_load_b128 v[6:9], v[4:5]
	s_wait_loadcnt_dscnt 0x0
	v_mul_f64_e32 v[6:7], v[2:3], v[6:7]
	v_mul_f64_e32 v[8:9], v[2:3], v[8:9]
	flat_store_b128 v[4:5], v[6:9]
.LBB130_7:                              ;   in Loop: Header=BB130_4 Depth=1
	s_wait_xcnt 0x0
	s_or_b32 exec_lo, exec_lo, s13
	s_and_saveexec_b32 s13, s1
	s_cbranch_execz .LBB130_2
; %bb.8:                                ;   in Loop: Header=BB130_4 Depth=1
	flat_load_b64 v[6:7], v[4:5]
	s_wait_loadcnt_dscnt 0x0
	v_mul_f64_e32 v[2:3], v[2:3], v[6:7]
	flat_store_b64 v[4:5], v[2:3]
	s_branch .LBB130_2
.LBB130_9:
	s_endpgm
	.section	.rodata,"a",@progbits
	.p2align	6, 0x0
	.amdhsa_kernel _ZL22rocblas_sscal_2_kernelILi256EddPKdPKPdEviT2_lT3_lli
		.amdhsa_group_segment_fixed_size 0
		.amdhsa_private_segment_fixed_size 0
		.amdhsa_kernarg_size 52
		.amdhsa_user_sgpr_count 2
		.amdhsa_user_sgpr_dispatch_ptr 0
		.amdhsa_user_sgpr_queue_ptr 0
		.amdhsa_user_sgpr_kernarg_segment_ptr 1
		.amdhsa_user_sgpr_dispatch_id 0
		.amdhsa_user_sgpr_kernarg_preload_length 0
		.amdhsa_user_sgpr_kernarg_preload_offset 0
		.amdhsa_user_sgpr_private_segment_size 0
		.amdhsa_wavefront_size32 1
		.amdhsa_uses_dynamic_stack 0
		.amdhsa_enable_private_segment 0
		.amdhsa_system_sgpr_workgroup_id_x 1
		.amdhsa_system_sgpr_workgroup_id_y 0
		.amdhsa_system_sgpr_workgroup_id_z 1
		.amdhsa_system_sgpr_workgroup_info 0
		.amdhsa_system_vgpr_workitem_id 0
		.amdhsa_next_free_vgpr 10
		.amdhsa_next_free_sgpr 16
		.amdhsa_named_barrier_count 0
		.amdhsa_reserve_vcc 1
		.amdhsa_float_round_mode_32 0
		.amdhsa_float_round_mode_16_64 0
		.amdhsa_float_denorm_mode_32 3
		.amdhsa_float_denorm_mode_16_64 3
		.amdhsa_fp16_overflow 0
		.amdhsa_memory_ordered 1
		.amdhsa_forward_progress 1
		.amdhsa_inst_pref_size 4
		.amdhsa_round_robin_scheduling 0
		.amdhsa_exception_fp_ieee_invalid_op 0
		.amdhsa_exception_fp_denorm_src 0
		.amdhsa_exception_fp_ieee_div_zero 0
		.amdhsa_exception_fp_ieee_overflow 0
		.amdhsa_exception_fp_ieee_underflow 0
		.amdhsa_exception_fp_ieee_inexact 0
		.amdhsa_exception_int_div_zero 0
	.end_amdhsa_kernel
	.section	.text._ZL22rocblas_sscal_2_kernelILi256EddPKdPKPdEviT2_lT3_lli,"axG",@progbits,_ZL22rocblas_sscal_2_kernelILi256EddPKdPKPdEviT2_lT3_lli,comdat
.Lfunc_end130:
	.size	_ZL22rocblas_sscal_2_kernelILi256EddPKdPKPdEviT2_lT3_lli, .Lfunc_end130-_ZL22rocblas_sscal_2_kernelILi256EddPKdPKPdEviT2_lT3_lli
                                        ; -- End function
	.set _ZL22rocblas_sscal_2_kernelILi256EddPKdPKPdEviT2_lT3_lli.num_vgpr, 10
	.set _ZL22rocblas_sscal_2_kernelILi256EddPKdPKPdEviT2_lT3_lli.num_agpr, 0
	.set _ZL22rocblas_sscal_2_kernelILi256EddPKdPKPdEviT2_lT3_lli.numbered_sgpr, 16
	.set _ZL22rocblas_sscal_2_kernelILi256EddPKdPKPdEviT2_lT3_lli.num_named_barrier, 0
	.set _ZL22rocblas_sscal_2_kernelILi256EddPKdPKPdEviT2_lT3_lli.private_seg_size, 0
	.set _ZL22rocblas_sscal_2_kernelILi256EddPKdPKPdEviT2_lT3_lli.uses_vcc, 1
	.set _ZL22rocblas_sscal_2_kernelILi256EddPKdPKPdEviT2_lT3_lli.uses_flat_scratch, 0
	.set _ZL22rocblas_sscal_2_kernelILi256EddPKdPKPdEviT2_lT3_lli.has_dyn_sized_stack, 0
	.set _ZL22rocblas_sscal_2_kernelILi256EddPKdPKPdEviT2_lT3_lli.has_recursion, 0
	.set _ZL22rocblas_sscal_2_kernelILi256EddPKdPKPdEviT2_lT3_lli.has_indirect_call, 0
	.section	.AMDGPU.csdata,"",@progbits
; Kernel info:
; codeLenInByte = 404
; TotalNumSgprs: 18
; NumVgprs: 10
; ScratchSize: 0
; MemoryBound: 0
; FloatMode: 240
; IeeeMode: 1
; LDSByteSize: 0 bytes/workgroup (compile time only)
; SGPRBlocks: 0
; VGPRBlocks: 0
; NumSGPRsForWavesPerEU: 18
; NumVGPRsForWavesPerEU: 10
; NamedBarCnt: 0
; Occupancy: 16
; WaveLimiterHint : 1
; COMPUTE_PGM_RSRC2:SCRATCH_EN: 0
; COMPUTE_PGM_RSRC2:USER_SGPR: 2
; COMPUTE_PGM_RSRC2:TRAP_HANDLER: 0
; COMPUTE_PGM_RSRC2:TGID_X_EN: 1
; COMPUTE_PGM_RSRC2:TGID_Y_EN: 0
; COMPUTE_PGM_RSRC2:TGID_Z_EN: 1
; COMPUTE_PGM_RSRC2:TIDIG_COMP_CNT: 0
	.section	.text._ZL22rocblas_sscal_2_kernelILi256EdddPKPdEviT2_lT3_lli,"axG",@progbits,_ZL22rocblas_sscal_2_kernelILi256EdddPKPdEviT2_lT3_lli,comdat
	.globl	_ZL22rocblas_sscal_2_kernelILi256EdddPKPdEviT2_lT3_lli ; -- Begin function _ZL22rocblas_sscal_2_kernelILi256EdddPKPdEviT2_lT3_lli
	.p2align	8
	.type	_ZL22rocblas_sscal_2_kernelILi256EdddPKPdEviT2_lT3_lli,@function
_ZL22rocblas_sscal_2_kernelILi256EdddPKPdEviT2_lT3_lli: ; @_ZL22rocblas_sscal_2_kernelILi256EdddPKPdEviT2_lT3_lli
; %bb.0:
	s_load_b32 s8, s[0:1], 0x30
	s_bfe_u32 s2, ttmp6, 0x40014
	s_lshr_b32 s3, ttmp7, 16
	s_add_co_i32 s2, s2, 1
	s_bfe_u32 s4, ttmp6, 0x40008
	s_mul_i32 s2, s3, s2
	s_getreg_b32 s10, hwreg(HW_REG_IB_STS2, 6, 4)
	s_add_co_i32 s4, s4, s2
	s_cmp_eq_u32 s10, 0
	s_cselect_b32 s9, s3, s4
	s_wait_kmcnt 0x0
	s_cmp_ge_u32 s9, s8
	s_cbranch_scc1 .LBB131_9
; %bb.1:
	s_load_b64 s[2:3], s[0:1], 0x8
	s_bfe_u32 s12, ttmp6, 0x4000c
	s_clause 0x1
	s_load_b32 s11, s[0:1], 0x0
	s_load_b128 s[4:7], s[0:1], 0x18
	s_add_co_i32 s12, s12, 1
	s_wait_xcnt 0x0
	s_and_b32 s0, ttmp6, 15
	s_mul_i32 s1, ttmp9, s12
	v_dual_mov_b32 v1, 0 :: v_dual_lshlrev_b32 v0, 1, v0
	s_add_co_i32 s0, s0, s1
	s_cmp_eq_u32 s10, 0
	s_cselect_b32 s0, ttmp9, s0
	s_delay_alu instid0(VALU_DEP_1) | instid1(SALU_CYCLE_1)
	v_lshl_or_b32 v0, s0, 9, v0
	s_delay_alu instid0(VALU_DEP_1)
	v_or_b32_e32 v2, 1, v0
	s_wait_kmcnt 0x0
	v_cmp_neq_f64_e64 s1, s[2:3], 1.0
	s_bitcmp1_b32 s11, 0
	s_cselect_b32 s10, -1, 0
	s_add_co_i32 s0, s11, -1
	s_lshl_b64 s[6:7], s[6:7], 3
	v_cmp_eq_u32_e32 vcc_lo, s0, v0
	v_cmp_gt_u32_e64 s0, s11, v2
	s_and_b32 s10, s10, vcc_lo
	s_branch .LBB131_4
.LBB131_2:                              ;   in Loop: Header=BB131_4 Depth=1
	s_wait_xcnt 0x0
	s_or_b32 exec_lo, exec_lo, s11
.LBB131_3:                              ;   in Loop: Header=BB131_4 Depth=1
	s_add_co_i32 s9, s9, 0x10000
	s_delay_alu instid0(SALU_CYCLE_1)
	s_cmp_lt_u32 s9, s8
	s_cbranch_scc0 .LBB131_9
.LBB131_4:                              ; =>This Inner Loop Header: Depth=1
	s_and_not1_b32 vcc_lo, exec_lo, s1
	s_cbranch_vccnz .LBB131_3
; %bb.5:                                ;   in Loop: Header=BB131_4 Depth=1
	s_load_b64 s[12:13], s[4:5], s9 offset:0x0 scale_offset
	s_wait_kmcnt 0x0
	s_add_nc_u64 s[12:13], s[12:13], s[6:7]
	s_delay_alu instid0(SALU_CYCLE_1)
	v_lshl_add_u64 v[2:3], v[0:1], 3, s[12:13]
	s_and_saveexec_b32 s11, s0
	s_cbranch_execz .LBB131_7
; %bb.6:                                ;   in Loop: Header=BB131_4 Depth=1
	flat_load_b128 v[4:7], v[2:3]
	s_wait_loadcnt_dscnt 0x0
	v_mul_f64_e32 v[4:5], s[2:3], v[4:5]
	v_mul_f64_e32 v[6:7], s[2:3], v[6:7]
	flat_store_b128 v[2:3], v[4:7]
.LBB131_7:                              ;   in Loop: Header=BB131_4 Depth=1
	s_wait_xcnt 0x0
	s_or_b32 exec_lo, exec_lo, s11
	s_and_saveexec_b32 s11, s10
	s_cbranch_execz .LBB131_2
; %bb.8:                                ;   in Loop: Header=BB131_4 Depth=1
	flat_load_b64 v[4:5], v[2:3]
	s_wait_loadcnt_dscnt 0x0
	v_mul_f64_e32 v[4:5], s[2:3], v[4:5]
	flat_store_b64 v[2:3], v[4:5]
	s_branch .LBB131_2
.LBB131_9:
	s_endpgm
	.section	.rodata,"a",@progbits
	.p2align	6, 0x0
	.amdhsa_kernel _ZL22rocblas_sscal_2_kernelILi256EdddPKPdEviT2_lT3_lli
		.amdhsa_group_segment_fixed_size 0
		.amdhsa_private_segment_fixed_size 0
		.amdhsa_kernarg_size 52
		.amdhsa_user_sgpr_count 2
		.amdhsa_user_sgpr_dispatch_ptr 0
		.amdhsa_user_sgpr_queue_ptr 0
		.amdhsa_user_sgpr_kernarg_segment_ptr 1
		.amdhsa_user_sgpr_dispatch_id 0
		.amdhsa_user_sgpr_kernarg_preload_length 0
		.amdhsa_user_sgpr_kernarg_preload_offset 0
		.amdhsa_user_sgpr_private_segment_size 0
		.amdhsa_wavefront_size32 1
		.amdhsa_uses_dynamic_stack 0
		.amdhsa_enable_private_segment 0
		.amdhsa_system_sgpr_workgroup_id_x 1
		.amdhsa_system_sgpr_workgroup_id_y 0
		.amdhsa_system_sgpr_workgroup_id_z 1
		.amdhsa_system_sgpr_workgroup_info 0
		.amdhsa_system_vgpr_workitem_id 0
		.amdhsa_next_free_vgpr 8
		.amdhsa_next_free_sgpr 14
		.amdhsa_named_barrier_count 0
		.amdhsa_reserve_vcc 1
		.amdhsa_float_round_mode_32 0
		.amdhsa_float_round_mode_16_64 0
		.amdhsa_float_denorm_mode_32 3
		.amdhsa_float_denorm_mode_16_64 3
		.amdhsa_fp16_overflow 0
		.amdhsa_memory_ordered 1
		.amdhsa_forward_progress 1
		.amdhsa_inst_pref_size 3
		.amdhsa_round_robin_scheduling 0
		.amdhsa_exception_fp_ieee_invalid_op 0
		.amdhsa_exception_fp_denorm_src 0
		.amdhsa_exception_fp_ieee_div_zero 0
		.amdhsa_exception_fp_ieee_overflow 0
		.amdhsa_exception_fp_ieee_underflow 0
		.amdhsa_exception_fp_ieee_inexact 0
		.amdhsa_exception_int_div_zero 0
	.end_amdhsa_kernel
	.section	.text._ZL22rocblas_sscal_2_kernelILi256EdddPKPdEviT2_lT3_lli,"axG",@progbits,_ZL22rocblas_sscal_2_kernelILi256EdddPKPdEviT2_lT3_lli,comdat
.Lfunc_end131:
	.size	_ZL22rocblas_sscal_2_kernelILi256EdddPKPdEviT2_lT3_lli, .Lfunc_end131-_ZL22rocblas_sscal_2_kernelILi256EdddPKPdEviT2_lT3_lli
                                        ; -- End function
	.set _ZL22rocblas_sscal_2_kernelILi256EdddPKPdEviT2_lT3_lli.num_vgpr, 8
	.set _ZL22rocblas_sscal_2_kernelILi256EdddPKPdEviT2_lT3_lli.num_agpr, 0
	.set _ZL22rocblas_sscal_2_kernelILi256EdddPKPdEviT2_lT3_lli.numbered_sgpr, 14
	.set _ZL22rocblas_sscal_2_kernelILi256EdddPKPdEviT2_lT3_lli.num_named_barrier, 0
	.set _ZL22rocblas_sscal_2_kernelILi256EdddPKPdEviT2_lT3_lli.private_seg_size, 0
	.set _ZL22rocblas_sscal_2_kernelILi256EdddPKPdEviT2_lT3_lli.uses_vcc, 1
	.set _ZL22rocblas_sscal_2_kernelILi256EdddPKPdEviT2_lT3_lli.uses_flat_scratch, 0
	.set _ZL22rocblas_sscal_2_kernelILi256EdddPKPdEviT2_lT3_lli.has_dyn_sized_stack, 0
	.set _ZL22rocblas_sscal_2_kernelILi256EdddPKPdEviT2_lT3_lli.has_recursion, 0
	.set _ZL22rocblas_sscal_2_kernelILi256EdddPKPdEviT2_lT3_lli.has_indirect_call, 0
	.section	.AMDGPU.csdata,"",@progbits
; Kernel info:
; codeLenInByte = 368
; TotalNumSgprs: 16
; NumVgprs: 8
; ScratchSize: 0
; MemoryBound: 0
; FloatMode: 240
; IeeeMode: 1
; LDSByteSize: 0 bytes/workgroup (compile time only)
; SGPRBlocks: 0
; VGPRBlocks: 0
; NumSGPRsForWavesPerEU: 16
; NumVGPRsForWavesPerEU: 8
; NamedBarCnt: 0
; Occupancy: 16
; WaveLimiterHint : 1
; COMPUTE_PGM_RSRC2:SCRATCH_EN: 0
; COMPUTE_PGM_RSRC2:USER_SGPR: 2
; COMPUTE_PGM_RSRC2:TRAP_HANDLER: 0
; COMPUTE_PGM_RSRC2:TGID_X_EN: 1
; COMPUTE_PGM_RSRC2:TGID_Y_EN: 0
; COMPUTE_PGM_RSRC2:TGID_Z_EN: 1
; COMPUTE_PGM_RSRC2:TIDIG_COMP_CNT: 0
	.section	.text._ZL19rocblas_scal_kernelIiLi256EddPKdPKPdEviT3_lT4_lT_li,"axG",@progbits,_ZL19rocblas_scal_kernelIiLi256EddPKdPKPdEviT3_lT4_lT_li,comdat
	.globl	_ZL19rocblas_scal_kernelIiLi256EddPKdPKPdEviT3_lT4_lT_li ; -- Begin function _ZL19rocblas_scal_kernelIiLi256EddPKdPKPdEviT3_lT4_lT_li
	.p2align	8
	.type	_ZL19rocblas_scal_kernelIiLi256EddPKdPKPdEviT3_lT4_lT_li,@function
_ZL19rocblas_scal_kernelIiLi256EddPKdPKPdEviT3_lT4_lT_li: ; @_ZL19rocblas_scal_kernelIiLi256EddPKdPKPdEviT3_lT4_lT_li
; %bb.0:
	s_load_b32 s12, s[0:1], 0x38
	s_bfe_u32 s2, ttmp6, 0x40014
	s_lshr_b32 s3, ttmp7, 16
	s_add_co_i32 s2, s2, 1
	s_bfe_u32 s5, ttmp6, 0x40008
	s_mul_i32 s2, s3, s2
	s_getreg_b32 s4, hwreg(HW_REG_IB_STS2, 6, 4)
	s_add_co_i32 s5, s5, s2
	s_cmp_eq_u32 s4, 0
	s_cselect_b32 s2, s3, s5
	s_mov_b32 s3, 0
	s_wait_kmcnt 0x0
	s_cmp_ge_u32 s2, s12
	s_cbranch_scc1 .LBB132_5
; %bb.1:
	s_load_b32 s6, s[0:1], 0x28
	s_bfe_u32 s5, ttmp6, 0x4000c
	s_and_b32 s7, ttmp6, 15
	s_add_co_i32 s5, s5, 1
	v_mov_b32_e32 v1, 0
	s_mul_i32 s5, ttmp9, s5
	s_delay_alu instid0(SALU_CYCLE_1) | instskip(SKIP_4) | instid1(SALU_CYCLE_1)
	s_add_co_i32 s5, s7, s5
	s_wait_kmcnt 0x0
	s_ashr_i32 s7, s6, 31
	s_cmp_eq_u32 s4, 0
	s_cselect_b32 s4, ttmp9, s5
	v_lshl_or_b32 v0, s4, 8, v0
	s_delay_alu instid0(VALU_DEP_1)
	v_mul_u64_e32 v[2:3], s[6:7], v[0:1]
	s_clause 0x1
	s_load_b32 s13, s[0:1], 0x0
	s_load_b256 s[4:11], s[0:1], 0x8
	s_wait_kmcnt 0x0
	v_cmp_gt_u32_e32 vcc_lo, s13, v0
	s_lshl_b64 s[10:11], s[10:11], 3
	s_branch .LBB132_3
.LBB132_2:                              ;   in Loop: Header=BB132_3 Depth=1
	s_wait_xcnt 0x0
	s_or_b32 exec_lo, exec_lo, s0
	s_add_co_i32 s2, s2, 0x10000
	s_delay_alu instid0(SALU_CYCLE_1)
	s_cmp_lt_u32 s2, s12
	s_cbranch_scc0 .LBB132_5
.LBB132_3:                              ; =>This Inner Loop Header: Depth=1
	s_mul_u64 s[0:1], s[6:7], s[2:3]
	s_delay_alu instid0(SALU_CYCLE_1) | instskip(NEXT) | instid1(SALU_CYCLE_1)
	s_lshl_b64 s[0:1], s[0:1], 3
	s_add_nc_u64 s[0:1], s[4:5], s[0:1]
	global_load_b64 v[4:5], v1, s[0:1]
	s_wait_loadcnt 0x0
	s_wait_xcnt 0x0
	v_cmp_neq_f64_e64 s0, 1.0, v[4:5]
	s_and_b32 s1, vcc_lo, s0
	s_delay_alu instid0(SALU_CYCLE_1)
	s_and_saveexec_b32 s0, s1
	s_cbranch_execz .LBB132_2
; %bb.4:                                ;   in Loop: Header=BB132_3 Depth=1
	s_lshl_b64 s[14:15], s[2:3], 3
	s_delay_alu instid0(SALU_CYCLE_1) | instskip(SKIP_4) | instid1(SALU_CYCLE_1)
	s_add_nc_u64 s[14:15], s[8:9], s[14:15]
	s_load_b64 s[14:15], s[14:15], 0x0
	s_wait_kmcnt 0x0
	s_wait_xcnt 0x0
	s_add_nc_u64 s[14:15], s[14:15], s[10:11]
	v_lshl_add_u64 v[6:7], v[2:3], 3, s[14:15]
	flat_load_b64 v[8:9], v[6:7]
	s_wait_loadcnt_dscnt 0x0
	v_mul_f64_e32 v[4:5], v[4:5], v[8:9]
	flat_store_b64 v[6:7], v[4:5]
	s_branch .LBB132_2
.LBB132_5:
	s_endpgm
	.section	.rodata,"a",@progbits
	.p2align	6, 0x0
	.amdhsa_kernel _ZL19rocblas_scal_kernelIiLi256EddPKdPKPdEviT3_lT4_lT_li
		.amdhsa_group_segment_fixed_size 0
		.amdhsa_private_segment_fixed_size 0
		.amdhsa_kernarg_size 60
		.amdhsa_user_sgpr_count 2
		.amdhsa_user_sgpr_dispatch_ptr 0
		.amdhsa_user_sgpr_queue_ptr 0
		.amdhsa_user_sgpr_kernarg_segment_ptr 1
		.amdhsa_user_sgpr_dispatch_id 0
		.amdhsa_user_sgpr_kernarg_preload_length 0
		.amdhsa_user_sgpr_kernarg_preload_offset 0
		.amdhsa_user_sgpr_private_segment_size 0
		.amdhsa_wavefront_size32 1
		.amdhsa_uses_dynamic_stack 0
		.amdhsa_enable_private_segment 0
		.amdhsa_system_sgpr_workgroup_id_x 1
		.amdhsa_system_sgpr_workgroup_id_y 0
		.amdhsa_system_sgpr_workgroup_id_z 1
		.amdhsa_system_sgpr_workgroup_info 0
		.amdhsa_system_vgpr_workitem_id 0
		.amdhsa_next_free_vgpr 10
		.amdhsa_next_free_sgpr 16
		.amdhsa_named_barrier_count 0
		.amdhsa_reserve_vcc 1
		.amdhsa_float_round_mode_32 0
		.amdhsa_float_round_mode_16_64 0
		.amdhsa_float_denorm_mode_32 3
		.amdhsa_float_denorm_mode_16_64 3
		.amdhsa_fp16_overflow 0
		.amdhsa_memory_ordered 1
		.amdhsa_forward_progress 1
		.amdhsa_inst_pref_size 3
		.amdhsa_round_robin_scheduling 0
		.amdhsa_exception_fp_ieee_invalid_op 0
		.amdhsa_exception_fp_denorm_src 0
		.amdhsa_exception_fp_ieee_div_zero 0
		.amdhsa_exception_fp_ieee_overflow 0
		.amdhsa_exception_fp_ieee_underflow 0
		.amdhsa_exception_fp_ieee_inexact 0
		.amdhsa_exception_int_div_zero 0
	.end_amdhsa_kernel
	.section	.text._ZL19rocblas_scal_kernelIiLi256EddPKdPKPdEviT3_lT4_lT_li,"axG",@progbits,_ZL19rocblas_scal_kernelIiLi256EddPKdPKPdEviT3_lT4_lT_li,comdat
.Lfunc_end132:
	.size	_ZL19rocblas_scal_kernelIiLi256EddPKdPKPdEviT3_lT4_lT_li, .Lfunc_end132-_ZL19rocblas_scal_kernelIiLi256EddPKdPKPdEviT3_lT4_lT_li
                                        ; -- End function
	.set _ZL19rocblas_scal_kernelIiLi256EddPKdPKPdEviT3_lT4_lT_li.num_vgpr, 10
	.set _ZL19rocblas_scal_kernelIiLi256EddPKdPKPdEviT3_lT4_lT_li.num_agpr, 0
	.set _ZL19rocblas_scal_kernelIiLi256EddPKdPKPdEviT3_lT4_lT_li.numbered_sgpr, 16
	.set _ZL19rocblas_scal_kernelIiLi256EddPKdPKPdEviT3_lT4_lT_li.num_named_barrier, 0
	.set _ZL19rocblas_scal_kernelIiLi256EddPKdPKPdEviT3_lT4_lT_li.private_seg_size, 0
	.set _ZL19rocblas_scal_kernelIiLi256EddPKdPKPdEviT3_lT4_lT_li.uses_vcc, 1
	.set _ZL19rocblas_scal_kernelIiLi256EddPKdPKPdEviT3_lT4_lT_li.uses_flat_scratch, 0
	.set _ZL19rocblas_scal_kernelIiLi256EddPKdPKPdEviT3_lT4_lT_li.has_dyn_sized_stack, 0
	.set _ZL19rocblas_scal_kernelIiLi256EddPKdPKPdEviT3_lT4_lT_li.has_recursion, 0
	.set _ZL19rocblas_scal_kernelIiLi256EddPKdPKPdEviT3_lT4_lT_li.has_indirect_call, 0
	.section	.AMDGPU.csdata,"",@progbits
; Kernel info:
; codeLenInByte = 344
; TotalNumSgprs: 18
; NumVgprs: 10
; ScratchSize: 0
; MemoryBound: 0
; FloatMode: 240
; IeeeMode: 1
; LDSByteSize: 0 bytes/workgroup (compile time only)
; SGPRBlocks: 0
; VGPRBlocks: 0
; NumSGPRsForWavesPerEU: 18
; NumVGPRsForWavesPerEU: 10
; NamedBarCnt: 0
; Occupancy: 16
; WaveLimiterHint : 1
; COMPUTE_PGM_RSRC2:SCRATCH_EN: 0
; COMPUTE_PGM_RSRC2:USER_SGPR: 2
; COMPUTE_PGM_RSRC2:TRAP_HANDLER: 0
; COMPUTE_PGM_RSRC2:TGID_X_EN: 1
; COMPUTE_PGM_RSRC2:TGID_Y_EN: 0
; COMPUTE_PGM_RSRC2:TGID_Z_EN: 1
; COMPUTE_PGM_RSRC2:TIDIG_COMP_CNT: 0
	.section	.text._ZL19rocblas_scal_kernelIiLi256EdddPKPdEviT3_lT4_lT_li,"axG",@progbits,_ZL19rocblas_scal_kernelIiLi256EdddPKPdEviT3_lT4_lT_li,comdat
	.globl	_ZL19rocblas_scal_kernelIiLi256EdddPKPdEviT3_lT4_lT_li ; -- Begin function _ZL19rocblas_scal_kernelIiLi256EdddPKPdEviT3_lT4_lT_li
	.p2align	8
	.type	_ZL19rocblas_scal_kernelIiLi256EdddPKPdEviT3_lT4_lT_li,@function
_ZL19rocblas_scal_kernelIiLi256EdddPKPdEviT3_lT4_lT_li: ; @_ZL19rocblas_scal_kernelIiLi256EdddPKPdEviT3_lT4_lT_li
; %bb.0:
	s_load_b32 s8, s[0:1], 0x38
	s_bfe_u32 s2, ttmp6, 0x40014
	s_lshr_b32 s3, ttmp7, 16
	s_add_co_i32 s2, s2, 1
	s_bfe_u32 s5, ttmp6, 0x40008
	s_mul_i32 s2, s3, s2
	s_getreg_b32 s4, hwreg(HW_REG_IB_STS2, 6, 4)
	s_add_co_i32 s5, s5, s2
	s_cmp_eq_u32 s4, 0
	s_cselect_b32 s9, s3, s5
	s_wait_kmcnt 0x0
	s_cmp_ge_u32 s9, s8
	s_cbranch_scc1 .LBB133_5
; %bb.1:
	s_clause 0x1
	s_load_b32 s6, s[0:1], 0x28
	s_load_b64 s[2:3], s[0:1], 0x8
	s_bfe_u32 s5, ttmp6, 0x4000c
	s_and_b32 s7, ttmp6, 15
	s_add_co_i32 s5, s5, 1
	v_mov_b32_e32 v3, 0
	s_mul_i32 s5, ttmp9, s5
	s_delay_alu instid0(SALU_CYCLE_1)
	s_add_co_i32 s5, s7, s5
	s_wait_kmcnt 0x0
	s_ashr_i32 s7, s6, 31
	s_cmp_eq_u32 s4, 0
	v_cmp_neq_f64_e64 s10, s[2:3], 1.0
	s_cselect_b32 s4, ttmp9, s5
	s_delay_alu instid0(SALU_CYCLE_1) | instskip(NEXT) | instid1(VALU_DEP_1)
	v_lshl_or_b32 v2, s4, 8, v0
	v_mul_u64_e32 v[0:1], s[6:7], v[2:3]
	s_clause 0x1
	s_load_b32 s11, s[0:1], 0x0
	s_load_b128 s[4:7], s[0:1], 0x18
	s_wait_kmcnt 0x0
	v_cmp_gt_u32_e32 vcc_lo, s11, v2
	s_lshl_b64 s[0:1], s[6:7], 3
	s_and_b32 s10, vcc_lo, s10
	s_branch .LBB133_3
.LBB133_2:                              ;   in Loop: Header=BB133_3 Depth=1
	s_wait_xcnt 0x0
	s_or_b32 exec_lo, exec_lo, s6
	s_add_co_i32 s9, s9, 0x10000
	s_delay_alu instid0(SALU_CYCLE_1)
	s_cmp_lt_u32 s9, s8
	s_cbranch_scc0 .LBB133_5
.LBB133_3:                              ; =>This Inner Loop Header: Depth=1
	s_and_saveexec_b32 s6, s10
	s_cbranch_execz .LBB133_2
; %bb.4:                                ;   in Loop: Header=BB133_3 Depth=1
	s_load_b64 s[12:13], s[4:5], s9 offset:0x0 scale_offset
	s_wait_kmcnt 0x0
	s_add_nc_u64 s[12:13], s[12:13], s[0:1]
	s_delay_alu instid0(VALU_DEP_2) | instid1(SALU_CYCLE_1)
	v_lshl_add_u64 v[2:3], v[0:1], 3, s[12:13]
	flat_load_b64 v[4:5], v[2:3]
	s_wait_loadcnt_dscnt 0x0
	v_mul_f64_e32 v[4:5], s[2:3], v[4:5]
	flat_store_b64 v[2:3], v[4:5]
	s_branch .LBB133_2
.LBB133_5:
	s_endpgm
	.section	.rodata,"a",@progbits
	.p2align	6, 0x0
	.amdhsa_kernel _ZL19rocblas_scal_kernelIiLi256EdddPKPdEviT3_lT4_lT_li
		.amdhsa_group_segment_fixed_size 0
		.amdhsa_private_segment_fixed_size 0
		.amdhsa_kernarg_size 60
		.amdhsa_user_sgpr_count 2
		.amdhsa_user_sgpr_dispatch_ptr 0
		.amdhsa_user_sgpr_queue_ptr 0
		.amdhsa_user_sgpr_kernarg_segment_ptr 1
		.amdhsa_user_sgpr_dispatch_id 0
		.amdhsa_user_sgpr_kernarg_preload_length 0
		.amdhsa_user_sgpr_kernarg_preload_offset 0
		.amdhsa_user_sgpr_private_segment_size 0
		.amdhsa_wavefront_size32 1
		.amdhsa_uses_dynamic_stack 0
		.amdhsa_enable_private_segment 0
		.amdhsa_system_sgpr_workgroup_id_x 1
		.amdhsa_system_sgpr_workgroup_id_y 0
		.amdhsa_system_sgpr_workgroup_id_z 1
		.amdhsa_system_sgpr_workgroup_info 0
		.amdhsa_system_vgpr_workitem_id 0
		.amdhsa_next_free_vgpr 6
		.amdhsa_next_free_sgpr 14
		.amdhsa_named_barrier_count 0
		.amdhsa_reserve_vcc 1
		.amdhsa_float_round_mode_32 0
		.amdhsa_float_round_mode_16_64 0
		.amdhsa_float_denorm_mode_32 3
		.amdhsa_float_denorm_mode_16_64 3
		.amdhsa_fp16_overflow 0
		.amdhsa_memory_ordered 1
		.amdhsa_forward_progress 1
		.amdhsa_inst_pref_size 3
		.amdhsa_round_robin_scheduling 0
		.amdhsa_exception_fp_ieee_invalid_op 0
		.amdhsa_exception_fp_denorm_src 0
		.amdhsa_exception_fp_ieee_div_zero 0
		.amdhsa_exception_fp_ieee_overflow 0
		.amdhsa_exception_fp_ieee_underflow 0
		.amdhsa_exception_fp_ieee_inexact 0
		.amdhsa_exception_int_div_zero 0
	.end_amdhsa_kernel
	.section	.text._ZL19rocblas_scal_kernelIiLi256EdddPKPdEviT3_lT4_lT_li,"axG",@progbits,_ZL19rocblas_scal_kernelIiLi256EdddPKPdEviT3_lT4_lT_li,comdat
.Lfunc_end133:
	.size	_ZL19rocblas_scal_kernelIiLi256EdddPKPdEviT3_lT4_lT_li, .Lfunc_end133-_ZL19rocblas_scal_kernelIiLi256EdddPKPdEviT3_lT4_lT_li
                                        ; -- End function
	.set _ZL19rocblas_scal_kernelIiLi256EdddPKPdEviT3_lT4_lT_li.num_vgpr, 6
	.set _ZL19rocblas_scal_kernelIiLi256EdddPKPdEviT3_lT4_lT_li.num_agpr, 0
	.set _ZL19rocblas_scal_kernelIiLi256EdddPKPdEviT3_lT4_lT_li.numbered_sgpr, 14
	.set _ZL19rocblas_scal_kernelIiLi256EdddPKPdEviT3_lT4_lT_li.num_named_barrier, 0
	.set _ZL19rocblas_scal_kernelIiLi256EdddPKPdEviT3_lT4_lT_li.private_seg_size, 0
	.set _ZL19rocblas_scal_kernelIiLi256EdddPKPdEviT3_lT4_lT_li.uses_vcc, 1
	.set _ZL19rocblas_scal_kernelIiLi256EdddPKPdEviT3_lT4_lT_li.uses_flat_scratch, 0
	.set _ZL19rocblas_scal_kernelIiLi256EdddPKPdEviT3_lT4_lT_li.has_dyn_sized_stack, 0
	.set _ZL19rocblas_scal_kernelIiLi256EdddPKPdEviT3_lT4_lT_li.has_recursion, 0
	.set _ZL19rocblas_scal_kernelIiLi256EdddPKPdEviT3_lT4_lT_li.has_indirect_call, 0
	.section	.AMDGPU.csdata,"",@progbits
; Kernel info:
; codeLenInByte = 300
; TotalNumSgprs: 16
; NumVgprs: 6
; ScratchSize: 0
; MemoryBound: 0
; FloatMode: 240
; IeeeMode: 1
; LDSByteSize: 0 bytes/workgroup (compile time only)
; SGPRBlocks: 0
; VGPRBlocks: 0
; NumSGPRsForWavesPerEU: 16
; NumVGPRsForWavesPerEU: 6
; NamedBarCnt: 0
; Occupancy: 16
; WaveLimiterHint : 1
; COMPUTE_PGM_RSRC2:SCRATCH_EN: 0
; COMPUTE_PGM_RSRC2:USER_SGPR: 2
; COMPUTE_PGM_RSRC2:TRAP_HANDLER: 0
; COMPUTE_PGM_RSRC2:TGID_X_EN: 1
; COMPUTE_PGM_RSRC2:TGID_Y_EN: 0
; COMPUTE_PGM_RSRC2:TGID_Z_EN: 1
; COMPUTE_PGM_RSRC2:TIDIG_COMP_CNT: 0
	.section	.text._ZL19rocblas_scal_kernelIlLi256EddPKdPKPdEviT3_lT4_lT_li,"axG",@progbits,_ZL19rocblas_scal_kernelIlLi256EddPKdPKPdEviT3_lT4_lT_li,comdat
	.globl	_ZL19rocblas_scal_kernelIlLi256EddPKdPKPdEviT3_lT4_lT_li ; -- Begin function _ZL19rocblas_scal_kernelIlLi256EddPKdPKPdEviT3_lT4_lT_li
	.p2align	8
	.type	_ZL19rocblas_scal_kernelIlLi256EddPKdPKPdEviT3_lT4_lT_li,@function
_ZL19rocblas_scal_kernelIlLi256EddPKdPKPdEviT3_lT4_lT_li: ; @_ZL19rocblas_scal_kernelIlLi256EddPKdPKPdEviT3_lT4_lT_li
; %bb.0:
	s_load_b32 s12, s[0:1], 0x38
	s_bfe_u32 s2, ttmp6, 0x40014
	s_lshr_b32 s3, ttmp7, 16
	s_add_co_i32 s2, s2, 1
	s_bfe_u32 s5, ttmp6, 0x40008
	s_mul_i32 s2, s3, s2
	s_getreg_b32 s4, hwreg(HW_REG_IB_STS2, 6, 4)
	s_add_co_i32 s5, s5, s2
	s_cmp_eq_u32 s4, 0
	s_cselect_b32 s2, s3, s5
	s_mov_b32 s3, 0
	s_wait_kmcnt 0x0
	s_cmp_ge_u32 s2, s12
	s_cbranch_scc1 .LBB134_5
; %bb.1:
	s_load_b64 s[6:7], s[0:1], 0x28
	s_bfe_u32 s5, ttmp6, 0x4000c
	s_and_b32 s8, ttmp6, 15
	s_add_co_i32 s5, s5, 1
	v_mov_b32_e32 v1, 0
	s_mul_i32 s5, ttmp9, s5
	s_delay_alu instid0(SALU_CYCLE_1) | instskip(SKIP_2) | instid1(SALU_CYCLE_1)
	s_add_co_i32 s8, s8, s5
	s_cmp_eq_u32 s4, 0
	s_cselect_b32 s4, ttmp9, s8
	v_lshl_or_b32 v0, s4, 8, v0
	s_wait_kmcnt 0x0
	s_delay_alu instid0(VALU_DEP_1)
	v_mul_u64_e32 v[2:3], s[6:7], v[0:1]
	s_clause 0x1
	s_load_b32 s13, s[0:1], 0x0
	s_load_b256 s[4:11], s[0:1], 0x8
	s_wait_kmcnt 0x0
	v_cmp_gt_u32_e32 vcc_lo, s13, v0
	s_lshl_b64 s[10:11], s[10:11], 3
	s_branch .LBB134_3
.LBB134_2:                              ;   in Loop: Header=BB134_3 Depth=1
	s_wait_xcnt 0x0
	s_or_b32 exec_lo, exec_lo, s0
	s_add_co_i32 s2, s2, 0x10000
	s_delay_alu instid0(SALU_CYCLE_1)
	s_cmp_lt_u32 s2, s12
	s_cbranch_scc0 .LBB134_5
.LBB134_3:                              ; =>This Inner Loop Header: Depth=1
	s_mul_u64 s[0:1], s[6:7], s[2:3]
	s_delay_alu instid0(SALU_CYCLE_1) | instskip(NEXT) | instid1(SALU_CYCLE_1)
	s_lshl_b64 s[0:1], s[0:1], 3
	s_add_nc_u64 s[0:1], s[4:5], s[0:1]
	global_load_b64 v[4:5], v1, s[0:1]
	s_wait_loadcnt 0x0
	s_wait_xcnt 0x0
	v_cmp_neq_f64_e64 s0, 1.0, v[4:5]
	s_and_b32 s1, vcc_lo, s0
	s_delay_alu instid0(SALU_CYCLE_1)
	s_and_saveexec_b32 s0, s1
	s_cbranch_execz .LBB134_2
; %bb.4:                                ;   in Loop: Header=BB134_3 Depth=1
	s_lshl_b64 s[14:15], s[2:3], 3
	s_delay_alu instid0(SALU_CYCLE_1) | instskip(SKIP_4) | instid1(SALU_CYCLE_1)
	s_add_nc_u64 s[14:15], s[8:9], s[14:15]
	s_load_b64 s[14:15], s[14:15], 0x0
	s_wait_kmcnt 0x0
	s_wait_xcnt 0x0
	s_add_nc_u64 s[14:15], s[14:15], s[10:11]
	v_lshl_add_u64 v[6:7], v[2:3], 3, s[14:15]
	flat_load_b64 v[8:9], v[6:7]
	s_wait_loadcnt_dscnt 0x0
	v_mul_f64_e32 v[4:5], v[4:5], v[8:9]
	flat_store_b64 v[6:7], v[4:5]
	s_branch .LBB134_2
.LBB134_5:
	s_endpgm
	.section	.rodata,"a",@progbits
	.p2align	6, 0x0
	.amdhsa_kernel _ZL19rocblas_scal_kernelIlLi256EddPKdPKPdEviT3_lT4_lT_li
		.amdhsa_group_segment_fixed_size 0
		.amdhsa_private_segment_fixed_size 0
		.amdhsa_kernarg_size 60
		.amdhsa_user_sgpr_count 2
		.amdhsa_user_sgpr_dispatch_ptr 0
		.amdhsa_user_sgpr_queue_ptr 0
		.amdhsa_user_sgpr_kernarg_segment_ptr 1
		.amdhsa_user_sgpr_dispatch_id 0
		.amdhsa_user_sgpr_kernarg_preload_length 0
		.amdhsa_user_sgpr_kernarg_preload_offset 0
		.amdhsa_user_sgpr_private_segment_size 0
		.amdhsa_wavefront_size32 1
		.amdhsa_uses_dynamic_stack 0
		.amdhsa_enable_private_segment 0
		.amdhsa_system_sgpr_workgroup_id_x 1
		.amdhsa_system_sgpr_workgroup_id_y 0
		.amdhsa_system_sgpr_workgroup_id_z 1
		.amdhsa_system_sgpr_workgroup_info 0
		.amdhsa_system_vgpr_workitem_id 0
		.amdhsa_next_free_vgpr 10
		.amdhsa_next_free_sgpr 16
		.amdhsa_named_barrier_count 0
		.amdhsa_reserve_vcc 1
		.amdhsa_float_round_mode_32 0
		.amdhsa_float_round_mode_16_64 0
		.amdhsa_float_denorm_mode_32 3
		.amdhsa_float_denorm_mode_16_64 3
		.amdhsa_fp16_overflow 0
		.amdhsa_memory_ordered 1
		.amdhsa_forward_progress 1
		.amdhsa_inst_pref_size 3
		.amdhsa_round_robin_scheduling 0
		.amdhsa_exception_fp_ieee_invalid_op 0
		.amdhsa_exception_fp_denorm_src 0
		.amdhsa_exception_fp_ieee_div_zero 0
		.amdhsa_exception_fp_ieee_overflow 0
		.amdhsa_exception_fp_ieee_underflow 0
		.amdhsa_exception_fp_ieee_inexact 0
		.amdhsa_exception_int_div_zero 0
	.end_amdhsa_kernel
	.section	.text._ZL19rocblas_scal_kernelIlLi256EddPKdPKPdEviT3_lT4_lT_li,"axG",@progbits,_ZL19rocblas_scal_kernelIlLi256EddPKdPKPdEviT3_lT4_lT_li,comdat
.Lfunc_end134:
	.size	_ZL19rocblas_scal_kernelIlLi256EddPKdPKPdEviT3_lT4_lT_li, .Lfunc_end134-_ZL19rocblas_scal_kernelIlLi256EddPKdPKPdEviT3_lT4_lT_li
                                        ; -- End function
	.set _ZL19rocblas_scal_kernelIlLi256EddPKdPKPdEviT3_lT4_lT_li.num_vgpr, 10
	.set _ZL19rocblas_scal_kernelIlLi256EddPKdPKPdEviT3_lT4_lT_li.num_agpr, 0
	.set _ZL19rocblas_scal_kernelIlLi256EddPKdPKPdEviT3_lT4_lT_li.numbered_sgpr, 16
	.set _ZL19rocblas_scal_kernelIlLi256EddPKdPKPdEviT3_lT4_lT_li.num_named_barrier, 0
	.set _ZL19rocblas_scal_kernelIlLi256EddPKdPKPdEviT3_lT4_lT_li.private_seg_size, 0
	.set _ZL19rocblas_scal_kernelIlLi256EddPKdPKPdEviT3_lT4_lT_li.uses_vcc, 1
	.set _ZL19rocblas_scal_kernelIlLi256EddPKdPKPdEviT3_lT4_lT_li.uses_flat_scratch, 0
	.set _ZL19rocblas_scal_kernelIlLi256EddPKdPKPdEviT3_lT4_lT_li.has_dyn_sized_stack, 0
	.set _ZL19rocblas_scal_kernelIlLi256EddPKdPKPdEviT3_lT4_lT_li.has_recursion, 0
	.set _ZL19rocblas_scal_kernelIlLi256EddPKdPKPdEviT3_lT4_lT_li.has_indirect_call, 0
	.section	.AMDGPU.csdata,"",@progbits
; Kernel info:
; codeLenInByte = 340
; TotalNumSgprs: 18
; NumVgprs: 10
; ScratchSize: 0
; MemoryBound: 0
; FloatMode: 240
; IeeeMode: 1
; LDSByteSize: 0 bytes/workgroup (compile time only)
; SGPRBlocks: 0
; VGPRBlocks: 0
; NumSGPRsForWavesPerEU: 18
; NumVGPRsForWavesPerEU: 10
; NamedBarCnt: 0
; Occupancy: 16
; WaveLimiterHint : 1
; COMPUTE_PGM_RSRC2:SCRATCH_EN: 0
; COMPUTE_PGM_RSRC2:USER_SGPR: 2
; COMPUTE_PGM_RSRC2:TRAP_HANDLER: 0
; COMPUTE_PGM_RSRC2:TGID_X_EN: 1
; COMPUTE_PGM_RSRC2:TGID_Y_EN: 0
; COMPUTE_PGM_RSRC2:TGID_Z_EN: 1
; COMPUTE_PGM_RSRC2:TIDIG_COMP_CNT: 0
	.section	.text._ZL19rocblas_scal_kernelIlLi256EdddPKPdEviT3_lT4_lT_li,"axG",@progbits,_ZL19rocblas_scal_kernelIlLi256EdddPKPdEviT3_lT4_lT_li,comdat
	.globl	_ZL19rocblas_scal_kernelIlLi256EdddPKPdEviT3_lT4_lT_li ; -- Begin function _ZL19rocblas_scal_kernelIlLi256EdddPKPdEviT3_lT4_lT_li
	.p2align	8
	.type	_ZL19rocblas_scal_kernelIlLi256EdddPKPdEviT3_lT4_lT_li,@function
_ZL19rocblas_scal_kernelIlLi256EdddPKPdEviT3_lT4_lT_li: ; @_ZL19rocblas_scal_kernelIlLi256EdddPKPdEviT3_lT4_lT_li
; %bb.0:
	s_load_b32 s8, s[0:1], 0x38
	s_bfe_u32 s2, ttmp6, 0x40014
	s_lshr_b32 s3, ttmp7, 16
	s_add_co_i32 s2, s2, 1
	s_bfe_u32 s5, ttmp6, 0x40008
	s_mul_i32 s2, s3, s2
	s_getreg_b32 s4, hwreg(HW_REG_IB_STS2, 6, 4)
	s_add_co_i32 s5, s5, s2
	s_cmp_eq_u32 s4, 0
	s_cselect_b32 s9, s3, s5
	s_wait_kmcnt 0x0
	s_cmp_ge_u32 s9, s8
	s_cbranch_scc1 .LBB135_5
; %bb.1:
	s_clause 0x1
	s_load_b64 s[2:3], s[0:1], 0x8
	s_load_b64 s[6:7], s[0:1], 0x28
	s_bfe_u32 s5, ttmp6, 0x4000c
	s_and_b32 s10, ttmp6, 15
	s_add_co_i32 s5, s5, 1
	v_mov_b32_e32 v3, 0
	s_mul_i32 s5, ttmp9, s5
	s_delay_alu instid0(SALU_CYCLE_1) | instskip(SKIP_2) | instid1(SALU_CYCLE_1)
	s_add_co_i32 s10, s10, s5
	s_cmp_eq_u32 s4, 0
	s_cselect_b32 s4, ttmp9, s10
	v_lshl_or_b32 v2, s4, 8, v0
	s_wait_kmcnt 0x0
	v_cmp_neq_f64_e64 s10, s[2:3], 1.0
	s_delay_alu instid0(VALU_DEP_2)
	v_mul_u64_e32 v[0:1], s[6:7], v[2:3]
	s_clause 0x1
	s_load_b32 s11, s[0:1], 0x0
	s_load_b128 s[4:7], s[0:1], 0x18
	s_wait_kmcnt 0x0
	v_cmp_gt_u32_e32 vcc_lo, s11, v2
	s_lshl_b64 s[0:1], s[6:7], 3
	s_and_b32 s10, vcc_lo, s10
	s_branch .LBB135_3
.LBB135_2:                              ;   in Loop: Header=BB135_3 Depth=1
	s_wait_xcnt 0x0
	s_or_b32 exec_lo, exec_lo, s6
	s_add_co_i32 s9, s9, 0x10000
	s_delay_alu instid0(SALU_CYCLE_1)
	s_cmp_lt_u32 s9, s8
	s_cbranch_scc0 .LBB135_5
.LBB135_3:                              ; =>This Inner Loop Header: Depth=1
	s_and_saveexec_b32 s6, s10
	s_cbranch_execz .LBB135_2
; %bb.4:                                ;   in Loop: Header=BB135_3 Depth=1
	s_load_b64 s[12:13], s[4:5], s9 offset:0x0 scale_offset
	s_wait_kmcnt 0x0
	s_add_nc_u64 s[12:13], s[12:13], s[0:1]
	s_delay_alu instid0(VALU_DEP_2) | instid1(SALU_CYCLE_1)
	v_lshl_add_u64 v[2:3], v[0:1], 3, s[12:13]
	flat_load_b64 v[4:5], v[2:3]
	s_wait_loadcnt_dscnt 0x0
	v_mul_f64_e32 v[4:5], s[2:3], v[4:5]
	flat_store_b64 v[2:3], v[4:5]
	s_branch .LBB135_2
.LBB135_5:
	s_endpgm
	.section	.rodata,"a",@progbits
	.p2align	6, 0x0
	.amdhsa_kernel _ZL19rocblas_scal_kernelIlLi256EdddPKPdEviT3_lT4_lT_li
		.amdhsa_group_segment_fixed_size 0
		.amdhsa_private_segment_fixed_size 0
		.amdhsa_kernarg_size 60
		.amdhsa_user_sgpr_count 2
		.amdhsa_user_sgpr_dispatch_ptr 0
		.amdhsa_user_sgpr_queue_ptr 0
		.amdhsa_user_sgpr_kernarg_segment_ptr 1
		.amdhsa_user_sgpr_dispatch_id 0
		.amdhsa_user_sgpr_kernarg_preload_length 0
		.amdhsa_user_sgpr_kernarg_preload_offset 0
		.amdhsa_user_sgpr_private_segment_size 0
		.amdhsa_wavefront_size32 1
		.amdhsa_uses_dynamic_stack 0
		.amdhsa_enable_private_segment 0
		.amdhsa_system_sgpr_workgroup_id_x 1
		.amdhsa_system_sgpr_workgroup_id_y 0
		.amdhsa_system_sgpr_workgroup_id_z 1
		.amdhsa_system_sgpr_workgroup_info 0
		.amdhsa_system_vgpr_workitem_id 0
		.amdhsa_next_free_vgpr 6
		.amdhsa_next_free_sgpr 14
		.amdhsa_named_barrier_count 0
		.amdhsa_reserve_vcc 1
		.amdhsa_float_round_mode_32 0
		.amdhsa_float_round_mode_16_64 0
		.amdhsa_float_denorm_mode_32 3
		.amdhsa_float_denorm_mode_16_64 3
		.amdhsa_fp16_overflow 0
		.amdhsa_memory_ordered 1
		.amdhsa_forward_progress 1
		.amdhsa_inst_pref_size 3
		.amdhsa_round_robin_scheduling 0
		.amdhsa_exception_fp_ieee_invalid_op 0
		.amdhsa_exception_fp_denorm_src 0
		.amdhsa_exception_fp_ieee_div_zero 0
		.amdhsa_exception_fp_ieee_overflow 0
		.amdhsa_exception_fp_ieee_underflow 0
		.amdhsa_exception_fp_ieee_inexact 0
		.amdhsa_exception_int_div_zero 0
	.end_amdhsa_kernel
	.section	.text._ZL19rocblas_scal_kernelIlLi256EdddPKPdEviT3_lT4_lT_li,"axG",@progbits,_ZL19rocblas_scal_kernelIlLi256EdddPKPdEviT3_lT4_lT_li,comdat
.Lfunc_end135:
	.size	_ZL19rocblas_scal_kernelIlLi256EdddPKPdEviT3_lT4_lT_li, .Lfunc_end135-_ZL19rocblas_scal_kernelIlLi256EdddPKPdEviT3_lT4_lT_li
                                        ; -- End function
	.set _ZL19rocblas_scal_kernelIlLi256EdddPKPdEviT3_lT4_lT_li.num_vgpr, 6
	.set _ZL19rocblas_scal_kernelIlLi256EdddPKPdEviT3_lT4_lT_li.num_agpr, 0
	.set _ZL19rocblas_scal_kernelIlLi256EdddPKPdEviT3_lT4_lT_li.numbered_sgpr, 14
	.set _ZL19rocblas_scal_kernelIlLi256EdddPKPdEviT3_lT4_lT_li.num_named_barrier, 0
	.set _ZL19rocblas_scal_kernelIlLi256EdddPKPdEviT3_lT4_lT_li.private_seg_size, 0
	.set _ZL19rocblas_scal_kernelIlLi256EdddPKPdEviT3_lT4_lT_li.uses_vcc, 1
	.set _ZL19rocblas_scal_kernelIlLi256EdddPKPdEviT3_lT4_lT_li.uses_flat_scratch, 0
	.set _ZL19rocblas_scal_kernelIlLi256EdddPKPdEviT3_lT4_lT_li.has_dyn_sized_stack, 0
	.set _ZL19rocblas_scal_kernelIlLi256EdddPKPdEviT3_lT4_lT_li.has_recursion, 0
	.set _ZL19rocblas_scal_kernelIlLi256EdddPKPdEviT3_lT4_lT_li.has_indirect_call, 0
	.section	.AMDGPU.csdata,"",@progbits
; Kernel info:
; codeLenInByte = 296
; TotalNumSgprs: 16
; NumVgprs: 6
; ScratchSize: 0
; MemoryBound: 0
; FloatMode: 240
; IeeeMode: 1
; LDSByteSize: 0 bytes/workgroup (compile time only)
; SGPRBlocks: 0
; VGPRBlocks: 0
; NumSGPRsForWavesPerEU: 16
; NumVGPRsForWavesPerEU: 6
; NamedBarCnt: 0
; Occupancy: 16
; WaveLimiterHint : 1
; COMPUTE_PGM_RSRC2:SCRATCH_EN: 0
; COMPUTE_PGM_RSRC2:USER_SGPR: 2
; COMPUTE_PGM_RSRC2:TRAP_HANDLER: 0
; COMPUTE_PGM_RSRC2:TGID_X_EN: 1
; COMPUTE_PGM_RSRC2:TGID_Y_EN: 0
; COMPUTE_PGM_RSRC2:TGID_Z_EN: 1
; COMPUTE_PGM_RSRC2:TIDIG_COMP_CNT: 0
	.section	.text._ZL22rocblas_sscal_2_kernelILi256E19rocblas_complex_numIfES1_PKS1_PS1_EviT2_lT3_lli,"axG",@progbits,_ZL22rocblas_sscal_2_kernelILi256E19rocblas_complex_numIfES1_PKS1_PS1_EviT2_lT3_lli,comdat
	.globl	_ZL22rocblas_sscal_2_kernelILi256E19rocblas_complex_numIfES1_PKS1_PS1_EviT2_lT3_lli ; -- Begin function _ZL22rocblas_sscal_2_kernelILi256E19rocblas_complex_numIfES1_PKS1_PS1_EviT2_lT3_lli
	.p2align	8
	.type	_ZL22rocblas_sscal_2_kernelILi256E19rocblas_complex_numIfES1_PKS1_PS1_EviT2_lT3_lli,@function
_ZL22rocblas_sscal_2_kernelILi256E19rocblas_complex_numIfES1_PKS1_PS1_EviT2_lT3_lli: ; @_ZL22rocblas_sscal_2_kernelILi256E19rocblas_complex_numIfES1_PKS1_PS1_EviT2_lT3_lli
; %bb.0:
	s_load_b32 s14, s[0:1], 0x30
	s_bfe_u32 s2, ttmp6, 0x40014
	s_lshr_b32 s3, ttmp7, 16
	s_add_co_i32 s2, s2, 1
	s_bfe_u32 s4, ttmp6, 0x40008
	s_mul_i32 s2, s3, s2
	s_getreg_b32 s12, hwreg(HW_REG_IB_STS2, 6, 4)
	s_add_co_i32 s4, s4, s2
	s_cmp_eq_u32 s12, 0
	s_cselect_b32 s2, s3, s4
	s_mov_b32 s3, 0
	s_wait_kmcnt 0x0
	s_cmp_ge_u32 s2, s14
	s_cbranch_scc1 .LBB136_9
; %bb.1:
	s_clause 0x2
	s_load_b128 s[4:7], s[0:1], 0x20
	s_load_b32 s13, s[0:1], 0x0
	s_load_b64 s[16:17], s[0:1], 0x18
	s_bfe_u32 s15, ttmp6, 0x4000c
	s_load_b128 s[8:11], s[0:1], 0x8
	s_add_co_i32 s15, s15, 1
	s_wait_xcnt 0x0
	s_and_b32 s0, ttmp6, 15
	s_mul_i32 s1, ttmp9, s15
	v_lshlrev_b32_e32 v0, 1, v0
	s_add_co_i32 s0, s0, s1
	s_wait_kmcnt 0x0
	s_lshl_b64 s[4:5], s[4:5], 3
	s_cmp_eq_u32 s12, 0
	s_add_nc_u64 s[4:5], s[16:17], s[4:5]
	s_cselect_b32 s0, ttmp9, s0
	s_bitcmp1_b32 s13, 0
	v_lshl_or_b32 v0, s0, 9, v0
	s_cselect_b32 s1, -1, 0
	s_add_co_i32 s0, s13, -1
	s_delay_alu instid0(VALU_DEP_1) | instskip(SKIP_1) | instid1(VALU_DEP_2)
	v_or_b32_e32 v1, 1, v0
	v_cmp_eq_u32_e32 vcc_lo, s0, v0
	v_cmp_gt_u32_e64 s0, s13, v1
	v_mov_b32_e32 v1, 0
	s_and_b32 s1, s1, vcc_lo
	s_branch .LBB136_4
.LBB136_2:                              ;   in Loop: Header=BB136_4 Depth=1
	s_wait_xcnt 0x0
	s_or_b32 exec_lo, exec_lo, s15
.LBB136_3:                              ;   in Loop: Header=BB136_4 Depth=1
	s_add_co_i32 s2, s2, 0x10000
	s_delay_alu instid0(SALU_CYCLE_1)
	s_cmp_lt_u32 s2, s14
	s_cbranch_scc0 .LBB136_9
.LBB136_4:                              ; =>This Inner Loop Header: Depth=1
	s_mul_u64 s[12:13], s[10:11], s[2:3]
	s_delay_alu instid0(SALU_CYCLE_1) | instskip(NEXT) | instid1(SALU_CYCLE_1)
	s_lshl_b64 s[12:13], s[12:13], 3
	s_add_nc_u64 s[16:17], s[8:9], s[12:13]
	s_load_b64 s[12:13], s[16:17], 0x0
	s_wait_kmcnt 0x0
	s_cmp_neq_f32 s12, 1.0
	s_cselect_b32 s15, -1, 0
	s_cmp_neq_f32 s13, 0
	s_wait_xcnt 0x0
	s_cselect_b32 s16, -1, 0
	s_delay_alu instid0(SALU_CYCLE_1) | instskip(NEXT) | instid1(SALU_CYCLE_1)
	s_or_b32 s15, s15, s16
	s_and_not1_b32 vcc_lo, exec_lo, s15
	s_cbranch_vccnz .LBB136_3
; %bb.5:                                ;   in Loop: Header=BB136_4 Depth=1
	s_mul_u64 s[16:17], s[6:7], s[2:3]
	s_delay_alu instid0(SALU_CYCLE_1) | instskip(NEXT) | instid1(SALU_CYCLE_1)
	s_lshl_b64 s[16:17], s[16:17], 3
	s_add_nc_u64 s[16:17], s[4:5], s[16:17]
	s_delay_alu instid0(SALU_CYCLE_1)
	v_lshl_add_u64 v[2:3], v[0:1], 3, s[16:17]
	s_and_saveexec_b32 s15, s0
	s_cbranch_execz .LBB136_7
; %bb.6:                                ;   in Loop: Header=BB136_4 Depth=1
	global_load_b128 v[4:7], v[2:3], off
	v_mov_b64_e32 v[8:9], s[12:13]
	s_wait_loadcnt 0x0
	s_delay_alu instid0(VALU_DEP_1) | instskip(NEXT) | instid1(VALU_DEP_1)
	v_pk_mul_f32 v[12:13], v[8:9], v[4:5] op_sel:[1,1] op_sel_hi:[0,1]
	v_pk_fma_f32 v[14:15], v[8:9], v[4:5], v[12:13] op_sel_hi:[1,0,1]
	v_mov_b32_e32 v10, v7
	v_pk_fma_f32 v[4:5], v[8:9], v[4:5], v[12:13] neg_lo:[0,0,1] neg_hi:[0,0,1]
	s_delay_alu instid0(VALU_DEP_3) | instskip(NEXT) | instid1(VALU_DEP_3)
	v_mov_b32_e32 v5, v15
	v_pk_mul_f32 v[10:11], v[8:9], v[10:11] op_sel:[1,0] op_sel_hi:[0,0]
	s_delay_alu instid0(VALU_DEP_1) | instskip(SKIP_1) | instid1(VALU_DEP_2)
	v_pk_fma_f32 v[16:17], v[8:9], v[6:7], v[10:11] op_sel_hi:[1,0,1]
	v_pk_fma_f32 v[6:7], v[8:9], v[6:7], v[10:11] neg_lo:[0,0,1] neg_hi:[0,0,1]
	v_mov_b32_e32 v7, v17
	global_store_b128 v[2:3], v[4:7], off
.LBB136_7:                              ;   in Loop: Header=BB136_4 Depth=1
	s_wait_xcnt 0x0
	s_or_b32 exec_lo, exec_lo, s15
	s_and_saveexec_b32 s15, s1
	s_cbranch_execz .LBB136_2
; %bb.8:                                ;   in Loop: Header=BB136_4 Depth=1
	global_load_b64 v[4:5], v[2:3], off
	v_mov_b64_e32 v[6:7], s[12:13]
	s_wait_loadcnt 0x0
	s_delay_alu instid0(VALU_DEP_1) | instskip(NEXT) | instid1(VALU_DEP_1)
	v_pk_mul_f32 v[8:9], v[6:7], v[4:5] op_sel:[1,1] op_sel_hi:[0,1]
	v_pk_fma_f32 v[10:11], v[6:7], v[4:5], v[8:9] op_sel_hi:[1,0,1]
	v_pk_fma_f32 v[4:5], v[6:7], v[4:5], v[8:9] neg_lo:[0,0,1] neg_hi:[0,0,1]
	s_delay_alu instid0(VALU_DEP_2)
	v_mov_b32_e32 v5, v11
	global_store_b64 v[2:3], v[4:5], off
	s_branch .LBB136_2
.LBB136_9:
	s_endpgm
	.section	.rodata,"a",@progbits
	.p2align	6, 0x0
	.amdhsa_kernel _ZL22rocblas_sscal_2_kernelILi256E19rocblas_complex_numIfES1_PKS1_PS1_EviT2_lT3_lli
		.amdhsa_group_segment_fixed_size 0
		.amdhsa_private_segment_fixed_size 0
		.amdhsa_kernarg_size 52
		.amdhsa_user_sgpr_count 2
		.amdhsa_user_sgpr_dispatch_ptr 0
		.amdhsa_user_sgpr_queue_ptr 0
		.amdhsa_user_sgpr_kernarg_segment_ptr 1
		.amdhsa_user_sgpr_dispatch_id 0
		.amdhsa_user_sgpr_kernarg_preload_length 0
		.amdhsa_user_sgpr_kernarg_preload_offset 0
		.amdhsa_user_sgpr_private_segment_size 0
		.amdhsa_wavefront_size32 1
		.amdhsa_uses_dynamic_stack 0
		.amdhsa_enable_private_segment 0
		.amdhsa_system_sgpr_workgroup_id_x 1
		.amdhsa_system_sgpr_workgroup_id_y 0
		.amdhsa_system_sgpr_workgroup_id_z 1
		.amdhsa_system_sgpr_workgroup_info 0
		.amdhsa_system_vgpr_workitem_id 0
		.amdhsa_next_free_vgpr 18
		.amdhsa_next_free_sgpr 18
		.amdhsa_named_barrier_count 0
		.amdhsa_reserve_vcc 1
		.amdhsa_float_round_mode_32 0
		.amdhsa_float_round_mode_16_64 0
		.amdhsa_float_denorm_mode_32 3
		.amdhsa_float_denorm_mode_16_64 3
		.amdhsa_fp16_overflow 0
		.amdhsa_memory_ordered 1
		.amdhsa_forward_progress 1
		.amdhsa_inst_pref_size 5
		.amdhsa_round_robin_scheduling 0
		.amdhsa_exception_fp_ieee_invalid_op 0
		.amdhsa_exception_fp_denorm_src 0
		.amdhsa_exception_fp_ieee_div_zero 0
		.amdhsa_exception_fp_ieee_overflow 0
		.amdhsa_exception_fp_ieee_underflow 0
		.amdhsa_exception_fp_ieee_inexact 0
		.amdhsa_exception_int_div_zero 0
	.end_amdhsa_kernel
	.section	.text._ZL22rocblas_sscal_2_kernelILi256E19rocblas_complex_numIfES1_PKS1_PS1_EviT2_lT3_lli,"axG",@progbits,_ZL22rocblas_sscal_2_kernelILi256E19rocblas_complex_numIfES1_PKS1_PS1_EviT2_lT3_lli,comdat
.Lfunc_end136:
	.size	_ZL22rocblas_sscal_2_kernelILi256E19rocblas_complex_numIfES1_PKS1_PS1_EviT2_lT3_lli, .Lfunc_end136-_ZL22rocblas_sscal_2_kernelILi256E19rocblas_complex_numIfES1_PKS1_PS1_EviT2_lT3_lli
                                        ; -- End function
	.set _ZL22rocblas_sscal_2_kernelILi256E19rocblas_complex_numIfES1_PKS1_PS1_EviT2_lT3_lli.num_vgpr, 18
	.set _ZL22rocblas_sscal_2_kernelILi256E19rocblas_complex_numIfES1_PKS1_PS1_EviT2_lT3_lli.num_agpr, 0
	.set _ZL22rocblas_sscal_2_kernelILi256E19rocblas_complex_numIfES1_PKS1_PS1_EviT2_lT3_lli.numbered_sgpr, 18
	.set _ZL22rocblas_sscal_2_kernelILi256E19rocblas_complex_numIfES1_PKS1_PS1_EviT2_lT3_lli.num_named_barrier, 0
	.set _ZL22rocblas_sscal_2_kernelILi256E19rocblas_complex_numIfES1_PKS1_PS1_EviT2_lT3_lli.private_seg_size, 0
	.set _ZL22rocblas_sscal_2_kernelILi256E19rocblas_complex_numIfES1_PKS1_PS1_EviT2_lT3_lli.uses_vcc, 1
	.set _ZL22rocblas_sscal_2_kernelILi256E19rocblas_complex_numIfES1_PKS1_PS1_EviT2_lT3_lli.uses_flat_scratch, 0
	.set _ZL22rocblas_sscal_2_kernelILi256E19rocblas_complex_numIfES1_PKS1_PS1_EviT2_lT3_lli.has_dyn_sized_stack, 0
	.set _ZL22rocblas_sscal_2_kernelILi256E19rocblas_complex_numIfES1_PKS1_PS1_EviT2_lT3_lli.has_recursion, 0
	.set _ZL22rocblas_sscal_2_kernelILi256E19rocblas_complex_numIfES1_PKS1_PS1_EviT2_lT3_lli.has_indirect_call, 0
	.section	.AMDGPU.csdata,"",@progbits
; Kernel info:
; codeLenInByte = 532
; TotalNumSgprs: 20
; NumVgprs: 18
; ScratchSize: 0
; MemoryBound: 0
; FloatMode: 240
; IeeeMode: 1
; LDSByteSize: 0 bytes/workgroup (compile time only)
; SGPRBlocks: 0
; VGPRBlocks: 1
; NumSGPRsForWavesPerEU: 20
; NumVGPRsForWavesPerEU: 18
; NamedBarCnt: 0
; Occupancy: 16
; WaveLimiterHint : 0
; COMPUTE_PGM_RSRC2:SCRATCH_EN: 0
; COMPUTE_PGM_RSRC2:USER_SGPR: 2
; COMPUTE_PGM_RSRC2:TRAP_HANDLER: 0
; COMPUTE_PGM_RSRC2:TGID_X_EN: 1
; COMPUTE_PGM_RSRC2:TGID_Y_EN: 0
; COMPUTE_PGM_RSRC2:TGID_Z_EN: 1
; COMPUTE_PGM_RSRC2:TIDIG_COMP_CNT: 0
	.section	.text._ZL22rocblas_sscal_2_kernelILi256E19rocblas_complex_numIfES1_S1_PS1_EviT2_lT3_lli,"axG",@progbits,_ZL22rocblas_sscal_2_kernelILi256E19rocblas_complex_numIfES1_S1_PS1_EviT2_lT3_lli,comdat
	.globl	_ZL22rocblas_sscal_2_kernelILi256E19rocblas_complex_numIfES1_S1_PS1_EviT2_lT3_lli ; -- Begin function _ZL22rocblas_sscal_2_kernelILi256E19rocblas_complex_numIfES1_S1_PS1_EviT2_lT3_lli
	.p2align	8
	.type	_ZL22rocblas_sscal_2_kernelILi256E19rocblas_complex_numIfES1_S1_PS1_EviT2_lT3_lli,@function
_ZL22rocblas_sscal_2_kernelILi256E19rocblas_complex_numIfES1_S1_PS1_EviT2_lT3_lli: ; @_ZL22rocblas_sscal_2_kernelILi256E19rocblas_complex_numIfES1_S1_PS1_EviT2_lT3_lli
; %bb.0:
	s_load_b32 s11, s[0:1], 0x30
	s_bfe_u32 s2, ttmp6, 0x40014
	s_lshr_b32 s3, ttmp7, 16
	s_add_co_i32 s2, s2, 1
	s_bfe_u32 s4, ttmp6, 0x40008
	s_mul_i32 s2, s3, s2
	s_getreg_b32 s12, hwreg(HW_REG_IB_STS2, 6, 4)
	s_add_co_i32 s4, s4, s2
	s_cmp_eq_u32 s12, 0
	s_cselect_b32 s2, s3, s4
	s_mov_b32 s3, 0
	s_wait_kmcnt 0x0
	s_cmp_ge_u32 s2, s11
	s_cbranch_scc1 .LBB137_9
; %bb.1:
	s_clause 0x1
	s_load_b128 s[4:7], s[0:1], 0x20
	s_load_b96 s[8:10], s[0:1], 0x0
	s_bfe_u32 s13, ttmp6, 0x4000c
	s_and_b32 s14, ttmp6, 15
	s_add_co_i32 s13, s13, 1
	v_dual_mov_b32 v1, 0 :: v_dual_lshlrev_b32 v0, 1, v0
	s_mul_i32 s13, ttmp9, s13
	s_delay_alu instid0(SALU_CYCLE_1)
	s_add_co_i32 s13, s14, s13
	s_wait_kmcnt 0x0
	s_lshl_b64 s[14:15], s[4:5], 3
	s_cmp_eq_u32 s12, 0
	s_mov_b32 s5, s10
	s_cselect_b32 s4, ttmp9, s13
	s_cmp_neq_f32 s9, 1.0
	s_load_b64 s[12:13], s[0:1], 0x18
	v_lshl_or_b32 v0, s4, 9, v0
	s_mov_b32 s4, s9
	s_wait_xcnt 0x0
	s_cselect_b32 s0, -1, 0
	s_cmp_neq_f32 s10, 0
	v_or_b32_e32 v2, 1, v0
	s_cselect_b32 s1, -1, 0
	s_delay_alu instid0(SALU_CYCLE_1) | instskip(SKIP_3) | instid1(SALU_CYCLE_1)
	s_or_b32 s1, s0, s1
	s_bitcmp1_b32 s8, 0
	s_cselect_b32 s16, -1, 0
	s_add_co_i32 s0, s8, -1
	v_cmp_eq_u32_e32 vcc_lo, s0, v0
	v_cmp_gt_u32_e64 s0, s8, v2
	s_mov_b32 s8, s10
	s_wait_kmcnt 0x0
	s_add_nc_u64 s[12:13], s[12:13], s[14:15]
	s_and_b32 s14, s16, vcc_lo
	s_branch .LBB137_4
.LBB137_2:                              ;   in Loop: Header=BB137_4 Depth=1
	s_wait_xcnt 0x0
	s_or_b32 exec_lo, exec_lo, s10
.LBB137_3:                              ;   in Loop: Header=BB137_4 Depth=1
	s_add_co_i32 s2, s2, 0x10000
	s_delay_alu instid0(SALU_CYCLE_1)
	s_cmp_lt_u32 s2, s11
	s_cbranch_scc0 .LBB137_9
.LBB137_4:                              ; =>This Inner Loop Header: Depth=1
	s_and_not1_b32 vcc_lo, exec_lo, s1
	s_cbranch_vccnz .LBB137_3
; %bb.5:                                ;   in Loop: Header=BB137_4 Depth=1
	s_mul_u64 s[16:17], s[6:7], s[2:3]
	s_delay_alu instid0(SALU_CYCLE_1) | instskip(NEXT) | instid1(SALU_CYCLE_1)
	s_lshl_b64 s[16:17], s[16:17], 3
	s_add_nc_u64 s[16:17], s[12:13], s[16:17]
	s_delay_alu instid0(SALU_CYCLE_1)
	v_lshl_add_u64 v[2:3], v[0:1], 3, s[16:17]
	s_and_saveexec_b32 s10, s0
	s_cbranch_execz .LBB137_7
; %bb.6:                                ;   in Loop: Header=BB137_4 Depth=1
	global_load_b128 v[4:7], v[2:3], off
	v_mov_b64_e32 v[8:9], s[8:9]
	v_mov_b64_e32 v[14:15], s[4:5]
	s_wait_loadcnt 0x0
	v_mov_b32_e32 v10, v7
	s_delay_alu instid0(VALU_DEP_3) | instskip(NEXT) | instid1(VALU_DEP_2)
	v_pk_mul_f32 v[12:13], v[8:9], v[4:5] op_sel:[0,1]
	v_pk_mul_f32 v[8:9], v[8:9], v[10:11] op_sel_hi:[1,0]
	s_delay_alu instid0(VALU_DEP_2) | instskip(SKIP_1) | instid1(VALU_DEP_3)
	v_pk_fma_f32 v[10:11], v[14:15], v[4:5], v[12:13] op_sel_hi:[1,0,1]
	v_pk_fma_f32 v[4:5], v[14:15], v[4:5], v[12:13] neg_lo:[0,0,1] neg_hi:[0,0,1]
	v_pk_fma_f32 v[16:17], v[14:15], v[6:7], v[8:9] op_sel_hi:[1,0,1]
	v_pk_fma_f32 v[6:7], v[14:15], v[6:7], v[8:9] neg_lo:[0,0,1] neg_hi:[0,0,1]
	s_delay_alu instid0(VALU_DEP_2)
	v_dual_mov_b32 v5, v11 :: v_dual_mov_b32 v7, v17
	global_store_b128 v[2:3], v[4:7], off
.LBB137_7:                              ;   in Loop: Header=BB137_4 Depth=1
	s_wait_xcnt 0x0
	s_or_b32 exec_lo, exec_lo, s10
	s_and_saveexec_b32 s10, s14
	s_cbranch_execz .LBB137_2
; %bb.8:                                ;   in Loop: Header=BB137_4 Depth=1
	global_load_b64 v[4:5], v[2:3], off
	v_mov_b64_e32 v[6:7], s[8:9]
	v_mov_b64_e32 v[8:9], s[4:5]
	s_wait_loadcnt 0x0
	s_delay_alu instid0(VALU_DEP_2) | instskip(NEXT) | instid1(VALU_DEP_1)
	v_pk_mul_f32 v[6:7], v[6:7], v[4:5] op_sel:[0,1]
	v_pk_fma_f32 v[10:11], v[8:9], v[4:5], v[6:7] op_sel_hi:[1,0,1]
	v_pk_fma_f32 v[4:5], v[8:9], v[4:5], v[6:7] neg_lo:[0,0,1] neg_hi:[0,0,1]
	s_delay_alu instid0(VALU_DEP_2)
	v_mov_b32_e32 v5, v11
	global_store_b64 v[2:3], v[4:5], off
	s_branch .LBB137_2
.LBB137_9:
	s_endpgm
	.section	.rodata,"a",@progbits
	.p2align	6, 0x0
	.amdhsa_kernel _ZL22rocblas_sscal_2_kernelILi256E19rocblas_complex_numIfES1_S1_PS1_EviT2_lT3_lli
		.amdhsa_group_segment_fixed_size 0
		.amdhsa_private_segment_fixed_size 0
		.amdhsa_kernarg_size 52
		.amdhsa_user_sgpr_count 2
		.amdhsa_user_sgpr_dispatch_ptr 0
		.amdhsa_user_sgpr_queue_ptr 0
		.amdhsa_user_sgpr_kernarg_segment_ptr 1
		.amdhsa_user_sgpr_dispatch_id 0
		.amdhsa_user_sgpr_kernarg_preload_length 0
		.amdhsa_user_sgpr_kernarg_preload_offset 0
		.amdhsa_user_sgpr_private_segment_size 0
		.amdhsa_wavefront_size32 1
		.amdhsa_uses_dynamic_stack 0
		.amdhsa_enable_private_segment 0
		.amdhsa_system_sgpr_workgroup_id_x 1
		.amdhsa_system_sgpr_workgroup_id_y 0
		.amdhsa_system_sgpr_workgroup_id_z 1
		.amdhsa_system_sgpr_workgroup_info 0
		.amdhsa_system_vgpr_workitem_id 0
		.amdhsa_next_free_vgpr 18
		.amdhsa_next_free_sgpr 18
		.amdhsa_named_barrier_count 0
		.amdhsa_reserve_vcc 1
		.amdhsa_float_round_mode_32 0
		.amdhsa_float_round_mode_16_64 0
		.amdhsa_float_denorm_mode_32 3
		.amdhsa_float_denorm_mode_16_64 3
		.amdhsa_fp16_overflow 0
		.amdhsa_memory_ordered 1
		.amdhsa_forward_progress 1
		.amdhsa_inst_pref_size 5
		.amdhsa_round_robin_scheduling 0
		.amdhsa_exception_fp_ieee_invalid_op 0
		.amdhsa_exception_fp_denorm_src 0
		.amdhsa_exception_fp_ieee_div_zero 0
		.amdhsa_exception_fp_ieee_overflow 0
		.amdhsa_exception_fp_ieee_underflow 0
		.amdhsa_exception_fp_ieee_inexact 0
		.amdhsa_exception_int_div_zero 0
	.end_amdhsa_kernel
	.section	.text._ZL22rocblas_sscal_2_kernelILi256E19rocblas_complex_numIfES1_S1_PS1_EviT2_lT3_lli,"axG",@progbits,_ZL22rocblas_sscal_2_kernelILi256E19rocblas_complex_numIfES1_S1_PS1_EviT2_lT3_lli,comdat
.Lfunc_end137:
	.size	_ZL22rocblas_sscal_2_kernelILi256E19rocblas_complex_numIfES1_S1_PS1_EviT2_lT3_lli, .Lfunc_end137-_ZL22rocblas_sscal_2_kernelILi256E19rocblas_complex_numIfES1_S1_PS1_EviT2_lT3_lli
                                        ; -- End function
	.set _ZL22rocblas_sscal_2_kernelILi256E19rocblas_complex_numIfES1_S1_PS1_EviT2_lT3_lli.num_vgpr, 18
	.set _ZL22rocblas_sscal_2_kernelILi256E19rocblas_complex_numIfES1_S1_PS1_EviT2_lT3_lli.num_agpr, 0
	.set _ZL22rocblas_sscal_2_kernelILi256E19rocblas_complex_numIfES1_S1_PS1_EviT2_lT3_lli.numbered_sgpr, 18
	.set _ZL22rocblas_sscal_2_kernelILi256E19rocblas_complex_numIfES1_S1_PS1_EviT2_lT3_lli.num_named_barrier, 0
	.set _ZL22rocblas_sscal_2_kernelILi256E19rocblas_complex_numIfES1_S1_PS1_EviT2_lT3_lli.private_seg_size, 0
	.set _ZL22rocblas_sscal_2_kernelILi256E19rocblas_complex_numIfES1_S1_PS1_EviT2_lT3_lli.uses_vcc, 1
	.set _ZL22rocblas_sscal_2_kernelILi256E19rocblas_complex_numIfES1_S1_PS1_EviT2_lT3_lli.uses_flat_scratch, 0
	.set _ZL22rocblas_sscal_2_kernelILi256E19rocblas_complex_numIfES1_S1_PS1_EviT2_lT3_lli.has_dyn_sized_stack, 0
	.set _ZL22rocblas_sscal_2_kernelILi256E19rocblas_complex_numIfES1_S1_PS1_EviT2_lT3_lli.has_recursion, 0
	.set _ZL22rocblas_sscal_2_kernelILi256E19rocblas_complex_numIfES1_S1_PS1_EviT2_lT3_lli.has_indirect_call, 0
	.section	.AMDGPU.csdata,"",@progbits
; Kernel info:
; codeLenInByte = 520
; TotalNumSgprs: 20
; NumVgprs: 18
; ScratchSize: 0
; MemoryBound: 0
; FloatMode: 240
; IeeeMode: 1
; LDSByteSize: 0 bytes/workgroup (compile time only)
; SGPRBlocks: 0
; VGPRBlocks: 1
; NumSGPRsForWavesPerEU: 20
; NumVGPRsForWavesPerEU: 18
; NamedBarCnt: 0
; Occupancy: 16
; WaveLimiterHint : 0
; COMPUTE_PGM_RSRC2:SCRATCH_EN: 0
; COMPUTE_PGM_RSRC2:USER_SGPR: 2
; COMPUTE_PGM_RSRC2:TRAP_HANDLER: 0
; COMPUTE_PGM_RSRC2:TGID_X_EN: 1
; COMPUTE_PGM_RSRC2:TGID_Y_EN: 0
; COMPUTE_PGM_RSRC2:TGID_Z_EN: 1
; COMPUTE_PGM_RSRC2:TIDIG_COMP_CNT: 0
	.section	.text._ZL19rocblas_scal_kernelIiLi256E19rocblas_complex_numIfES1_PKS1_PS1_EviT3_lT4_lT_li,"axG",@progbits,_ZL19rocblas_scal_kernelIiLi256E19rocblas_complex_numIfES1_PKS1_PS1_EviT3_lT4_lT_li,comdat
	.globl	_ZL19rocblas_scal_kernelIiLi256E19rocblas_complex_numIfES1_PKS1_PS1_EviT3_lT4_lT_li ; -- Begin function _ZL19rocblas_scal_kernelIiLi256E19rocblas_complex_numIfES1_PKS1_PS1_EviT3_lT4_lT_li
	.p2align	8
	.type	_ZL19rocblas_scal_kernelIiLi256E19rocblas_complex_numIfES1_PKS1_PS1_EviT3_lT4_lT_li,@function
_ZL19rocblas_scal_kernelIiLi256E19rocblas_complex_numIfES1_PKS1_PS1_EviT3_lT4_lT_li: ; @_ZL19rocblas_scal_kernelIiLi256E19rocblas_complex_numIfES1_PKS1_PS1_EviT3_lT4_lT_li
; %bb.0:
	s_load_b32 s14, s[0:1], 0x38
	s_bfe_u32 s2, ttmp6, 0x40014
	s_lshr_b32 s3, ttmp7, 16
	s_add_co_i32 s2, s2, 1
	s_bfe_u32 s4, ttmp6, 0x40008
	s_mul_i32 s2, s3, s2
	s_getreg_b32 s15, hwreg(HW_REG_IB_STS2, 6, 4)
	s_add_co_i32 s4, s4, s2
	s_cmp_eq_u32 s15, 0
	s_cselect_b32 s2, s3, s4
	s_mov_b32 s3, 0
	s_wait_kmcnt 0x0
	s_cmp_ge_u32 s2, s14
	s_cbranch_scc1 .LBB138_5
; %bb.1:
	s_clause 0x1
	s_load_b32 s16, s[0:1], 0x28
	s_load_b256 s[4:11], s[0:1], 0x8
	s_bfe_u32 s12, ttmp6, 0x4000c
	s_and_b32 s17, ttmp6, 15
	s_add_co_i32 s12, s12, 1
	v_mov_b32_e32 v1, 0
	s_mul_i32 s18, ttmp9, s12
	s_load_b64 s[12:13], s[0:1], 0x30
	s_add_co_i32 s18, s17, s18
	s_wait_kmcnt 0x0
	s_ashr_i32 s17, s16, 31
	s_lshl_b64 s[10:11], s[10:11], 3
	s_cmp_eq_u32 s15, 0
	s_cselect_b32 s15, ttmp9, s18
	s_delay_alu instid0(SALU_CYCLE_1) | instskip(SKIP_3) | instid1(VALU_DEP_1)
	v_lshl_or_b32 v0, s15, 8, v0
	s_load_b32 s15, s[0:1], 0x0
	s_wait_xcnt 0x0
	s_add_nc_u64 s[0:1], s[8:9], s[10:11]
	v_mul_u64_e32 v[2:3], s[16:17], v[0:1]
	s_wait_kmcnt 0x0
	v_cmp_gt_u32_e32 vcc_lo, s15, v0
	s_delay_alu instid0(VALU_DEP_2)
	v_lshl_add_u64 v[2:3], v[2:3], 3, s[0:1]
	s_branch .LBB138_3
.LBB138_2:                              ;   in Loop: Header=BB138_3 Depth=1
	s_wait_xcnt 0x0
	s_or_b32 exec_lo, exec_lo, s0
	s_add_co_i32 s2, s2, 0x10000
	s_delay_alu instid0(SALU_CYCLE_1)
	s_cmp_lt_u32 s2, s14
	s_cbranch_scc0 .LBB138_5
.LBB138_3:                              ; =>This Inner Loop Header: Depth=1
	s_mul_u64 s[0:1], s[6:7], s[2:3]
	s_delay_alu instid0(SALU_CYCLE_1) | instskip(NEXT) | instid1(SALU_CYCLE_1)
	s_lshl_b64 s[0:1], s[0:1], 3
	s_add_nc_u64 s[0:1], s[4:5], s[0:1]
	global_load_b64 v[4:5], v1, s[0:1]
	s_wait_loadcnt 0x0
	s_wait_xcnt 0x0
	v_cmp_neq_f32_e64 s0, 1.0, v4
	v_cmp_neq_f32_e64 s1, 0, v5
	s_or_b32 s0, s0, s1
	s_delay_alu instid0(SALU_CYCLE_1) | instskip(NEXT) | instid1(SALU_CYCLE_1)
	s_and_b32 s1, vcc_lo, s0
	s_and_saveexec_b32 s0, s1
	s_cbranch_execz .LBB138_2
; %bb.4:                                ;   in Loop: Header=BB138_3 Depth=1
	s_mul_u64 s[8:9], s[12:13], s[2:3]
	s_delay_alu instid0(SALU_CYCLE_1) | instskip(SKIP_3) | instid1(VALU_DEP_1)
	v_lshl_add_u64 v[6:7], s[8:9], 3, v[2:3]
	global_load_b64 v[8:9], v[6:7], off
	s_wait_loadcnt 0x0
	v_pk_mul_f32 v[10:11], v[4:5], v[8:9] op_sel:[1,1] op_sel_hi:[0,1]
	v_pk_fma_f32 v[12:13], v[4:5], v[8:9], v[10:11] op_sel_hi:[1,0,1]
	v_pk_fma_f32 v[4:5], v[4:5], v[8:9], v[10:11] neg_lo:[0,0,1] neg_hi:[0,0,1]
	s_delay_alu instid0(VALU_DEP_2)
	v_mov_b32_e32 v5, v13
	global_store_b64 v[6:7], v[4:5], off
	s_branch .LBB138_2
.LBB138_5:
	s_endpgm
	.section	.rodata,"a",@progbits
	.p2align	6, 0x0
	.amdhsa_kernel _ZL19rocblas_scal_kernelIiLi256E19rocblas_complex_numIfES1_PKS1_PS1_EviT3_lT4_lT_li
		.amdhsa_group_segment_fixed_size 0
		.amdhsa_private_segment_fixed_size 0
		.amdhsa_kernarg_size 60
		.amdhsa_user_sgpr_count 2
		.amdhsa_user_sgpr_dispatch_ptr 0
		.amdhsa_user_sgpr_queue_ptr 0
		.amdhsa_user_sgpr_kernarg_segment_ptr 1
		.amdhsa_user_sgpr_dispatch_id 0
		.amdhsa_user_sgpr_kernarg_preload_length 0
		.amdhsa_user_sgpr_kernarg_preload_offset 0
		.amdhsa_user_sgpr_private_segment_size 0
		.amdhsa_wavefront_size32 1
		.amdhsa_uses_dynamic_stack 0
		.amdhsa_enable_private_segment 0
		.amdhsa_system_sgpr_workgroup_id_x 1
		.amdhsa_system_sgpr_workgroup_id_y 0
		.amdhsa_system_sgpr_workgroup_id_z 1
		.amdhsa_system_sgpr_workgroup_info 0
		.amdhsa_system_vgpr_workitem_id 0
		.amdhsa_next_free_vgpr 14
		.amdhsa_next_free_sgpr 19
		.amdhsa_named_barrier_count 0
		.amdhsa_reserve_vcc 1
		.amdhsa_float_round_mode_32 0
		.amdhsa_float_round_mode_16_64 0
		.amdhsa_float_denorm_mode_32 3
		.amdhsa_float_denorm_mode_16_64 3
		.amdhsa_fp16_overflow 0
		.amdhsa_memory_ordered 1
		.amdhsa_forward_progress 1
		.amdhsa_inst_pref_size 3
		.amdhsa_round_robin_scheduling 0
		.amdhsa_exception_fp_ieee_invalid_op 0
		.amdhsa_exception_fp_denorm_src 0
		.amdhsa_exception_fp_ieee_div_zero 0
		.amdhsa_exception_fp_ieee_overflow 0
		.amdhsa_exception_fp_ieee_underflow 0
		.amdhsa_exception_fp_ieee_inexact 0
		.amdhsa_exception_int_div_zero 0
	.end_amdhsa_kernel
	.section	.text._ZL19rocblas_scal_kernelIiLi256E19rocblas_complex_numIfES1_PKS1_PS1_EviT3_lT4_lT_li,"axG",@progbits,_ZL19rocblas_scal_kernelIiLi256E19rocblas_complex_numIfES1_PKS1_PS1_EviT3_lT4_lT_li,comdat
.Lfunc_end138:
	.size	_ZL19rocblas_scal_kernelIiLi256E19rocblas_complex_numIfES1_PKS1_PS1_EviT3_lT4_lT_li, .Lfunc_end138-_ZL19rocblas_scal_kernelIiLi256E19rocblas_complex_numIfES1_PKS1_PS1_EviT3_lT4_lT_li
                                        ; -- End function
	.set _ZL19rocblas_scal_kernelIiLi256E19rocblas_complex_numIfES1_PKS1_PS1_EviT3_lT4_lT_li.num_vgpr, 14
	.set _ZL19rocblas_scal_kernelIiLi256E19rocblas_complex_numIfES1_PKS1_PS1_EviT3_lT4_lT_li.num_agpr, 0
	.set _ZL19rocblas_scal_kernelIiLi256E19rocblas_complex_numIfES1_PKS1_PS1_EviT3_lT4_lT_li.numbered_sgpr, 19
	.set _ZL19rocblas_scal_kernelIiLi256E19rocblas_complex_numIfES1_PKS1_PS1_EviT3_lT4_lT_li.num_named_barrier, 0
	.set _ZL19rocblas_scal_kernelIiLi256E19rocblas_complex_numIfES1_PKS1_PS1_EviT3_lT4_lT_li.private_seg_size, 0
	.set _ZL19rocblas_scal_kernelIiLi256E19rocblas_complex_numIfES1_PKS1_PS1_EviT3_lT4_lT_li.uses_vcc, 1
	.set _ZL19rocblas_scal_kernelIiLi256E19rocblas_complex_numIfES1_PKS1_PS1_EviT3_lT4_lT_li.uses_flat_scratch, 0
	.set _ZL19rocblas_scal_kernelIiLi256E19rocblas_complex_numIfES1_PKS1_PS1_EviT3_lT4_lT_li.has_dyn_sized_stack, 0
	.set _ZL19rocblas_scal_kernelIiLi256E19rocblas_complex_numIfES1_PKS1_PS1_EviT3_lT4_lT_li.has_recursion, 0
	.set _ZL19rocblas_scal_kernelIiLi256E19rocblas_complex_numIfES1_PKS1_PS1_EviT3_lT4_lT_li.has_indirect_call, 0
	.section	.AMDGPU.csdata,"",@progbits
; Kernel info:
; codeLenInByte = 384
; TotalNumSgprs: 21
; NumVgprs: 14
; ScratchSize: 0
; MemoryBound: 0
; FloatMode: 240
; IeeeMode: 1
; LDSByteSize: 0 bytes/workgroup (compile time only)
; SGPRBlocks: 0
; VGPRBlocks: 0
; NumSGPRsForWavesPerEU: 21
; NumVGPRsForWavesPerEU: 14
; NamedBarCnt: 0
; Occupancy: 16
; WaveLimiterHint : 0
; COMPUTE_PGM_RSRC2:SCRATCH_EN: 0
; COMPUTE_PGM_RSRC2:USER_SGPR: 2
; COMPUTE_PGM_RSRC2:TRAP_HANDLER: 0
; COMPUTE_PGM_RSRC2:TGID_X_EN: 1
; COMPUTE_PGM_RSRC2:TGID_Y_EN: 0
; COMPUTE_PGM_RSRC2:TGID_Z_EN: 1
; COMPUTE_PGM_RSRC2:TIDIG_COMP_CNT: 0
	.section	.text._ZL19rocblas_scal_kernelIiLi256E19rocblas_complex_numIfES1_S1_PS1_EviT3_lT4_lT_li,"axG",@progbits,_ZL19rocblas_scal_kernelIiLi256E19rocblas_complex_numIfES1_S1_PS1_EviT3_lT4_lT_li,comdat
	.globl	_ZL19rocblas_scal_kernelIiLi256E19rocblas_complex_numIfES1_S1_PS1_EviT3_lT4_lT_li ; -- Begin function _ZL19rocblas_scal_kernelIiLi256E19rocblas_complex_numIfES1_S1_PS1_EviT3_lT4_lT_li
	.p2align	8
	.type	_ZL19rocblas_scal_kernelIiLi256E19rocblas_complex_numIfES1_S1_PS1_EviT3_lT4_lT_li,@function
_ZL19rocblas_scal_kernelIiLi256E19rocblas_complex_numIfES1_S1_PS1_EviT3_lT4_lT_li: ; @_ZL19rocblas_scal_kernelIiLi256E19rocblas_complex_numIfES1_S1_PS1_EviT3_lT4_lT_li
; %bb.0:
	s_load_b32 s3, s[0:1], 0x38
	s_bfe_u32 s2, ttmp6, 0x40014
	s_lshr_b32 s4, ttmp7, 16
	s_add_co_i32 s2, s2, 1
	s_bfe_u32 s6, ttmp6, 0x40008
	s_mul_i32 s5, s4, s2
	s_getreg_b32 s2, hwreg(HW_REG_IB_STS2, 6, 4)
	s_add_co_i32 s6, s6, s5
	s_cmp_eq_u32 s2, 0
	s_mov_b32 s5, 0
	s_cselect_b32 s4, s4, s6
	s_wait_kmcnt 0x0
	s_cmp_ge_u32 s4, s3
	s_cbranch_scc1 .LBB139_5
; %bb.1:
	s_clause 0x1
	s_load_b32 s8, s[0:1], 0x28
	s_load_b128 s[12:15], s[0:1], 0x18
	s_bfe_u32 s6, ttmp6, 0x4000c
	s_and_b32 s9, ttmp6, 15
	s_add_co_i32 s6, s6, 1
	v_mov_b32_e32 v1, 0
	s_mul_i32 s10, ttmp9, s6
	s_load_b64 s[6:7], s[0:1], 0x30
	s_add_co_i32 s16, s9, s10
	s_wait_kmcnt 0x0
	s_ashr_i32 s9, s8, 31
	s_lshl_b64 s[10:11], s[14:15], 3
	s_cmp_eq_u32 s2, 0
	s_add_nc_u64 s[10:11], s[12:13], s[10:11]
	s_cselect_b32 s2, ttmp9, s16
	s_delay_alu instid0(SALU_CYCLE_1) | instskip(SKIP_1) | instid1(VALU_DEP_1)
	v_lshl_or_b32 v0, s2, 8, v0
	s_load_b96 s[0:2], s[0:1], 0x0
	v_mul_u64_e32 v[2:3], s[8:9], v[0:1]
	s_wait_kmcnt 0x0
	s_cmp_neq_f32 s1, 1.0
	v_cmp_gt_u32_e32 vcc_lo, s0, v0
	s_mov_b32 s8, s1
	s_cselect_b32 s9, -1, 0
	s_cmp_neq_f32 s2, 0
	s_cselect_b32 s14, -1, 0
	s_delay_alu instid0(SALU_CYCLE_1) | instskip(SKIP_1) | instid1(VALU_DEP_2)
	s_or_b32 s0, s9, s14
	s_mov_b32 s9, s2
	v_lshl_add_u64 v[0:1], v[2:3], 3, s[10:11]
	s_and_b32 s10, vcc_lo, s0
	s_mov_b32 s0, s2
	s_branch .LBB139_3
.LBB139_2:                              ;   in Loop: Header=BB139_3 Depth=1
	s_wait_xcnt 0x0
	s_or_b32 exec_lo, exec_lo, s2
	s_add_co_i32 s4, s4, 0x10000
	s_delay_alu instid0(SALU_CYCLE_1)
	s_cmp_lt_u32 s4, s3
	s_cbranch_scc0 .LBB139_5
.LBB139_3:                              ; =>This Inner Loop Header: Depth=1
	s_and_saveexec_b32 s2, s10
	s_cbranch_execz .LBB139_2
; %bb.4:                                ;   in Loop: Header=BB139_3 Depth=1
	s_mul_u64 s[12:13], s[6:7], s[4:5]
	v_mov_b64_e32 v[6:7], s[0:1]
	v_lshl_add_u64 v[2:3], s[12:13], 3, v[0:1]
	v_mov_b64_e32 v[8:9], s[8:9]
	global_load_b64 v[4:5], v[2:3], off
	s_wait_loadcnt 0x0
	v_pk_mul_f32 v[6:7], v[6:7], v[4:5] op_sel:[0,1]
	s_delay_alu instid0(VALU_DEP_1) | instskip(SKIP_1) | instid1(VALU_DEP_2)
	v_pk_fma_f32 v[10:11], v[8:9], v[4:5], v[6:7] op_sel_hi:[1,0,1]
	v_pk_fma_f32 v[4:5], v[8:9], v[4:5], v[6:7] neg_lo:[0,0,1] neg_hi:[0,0,1]
	v_mov_b32_e32 v5, v11
	global_store_b64 v[2:3], v[4:5], off
	s_branch .LBB139_2
.LBB139_5:
	s_endpgm
	.section	.rodata,"a",@progbits
	.p2align	6, 0x0
	.amdhsa_kernel _ZL19rocblas_scal_kernelIiLi256E19rocblas_complex_numIfES1_S1_PS1_EviT3_lT4_lT_li
		.amdhsa_group_segment_fixed_size 0
		.amdhsa_private_segment_fixed_size 0
		.amdhsa_kernarg_size 60
		.amdhsa_user_sgpr_count 2
		.amdhsa_user_sgpr_dispatch_ptr 0
		.amdhsa_user_sgpr_queue_ptr 0
		.amdhsa_user_sgpr_kernarg_segment_ptr 1
		.amdhsa_user_sgpr_dispatch_id 0
		.amdhsa_user_sgpr_kernarg_preload_length 0
		.amdhsa_user_sgpr_kernarg_preload_offset 0
		.amdhsa_user_sgpr_private_segment_size 0
		.amdhsa_wavefront_size32 1
		.amdhsa_uses_dynamic_stack 0
		.amdhsa_enable_private_segment 0
		.amdhsa_system_sgpr_workgroup_id_x 1
		.amdhsa_system_sgpr_workgroup_id_y 0
		.amdhsa_system_sgpr_workgroup_id_z 1
		.amdhsa_system_sgpr_workgroup_info 0
		.amdhsa_system_vgpr_workitem_id 0
		.amdhsa_next_free_vgpr 12
		.amdhsa_next_free_sgpr 17
		.amdhsa_named_barrier_count 0
		.amdhsa_reserve_vcc 1
		.amdhsa_float_round_mode_32 0
		.amdhsa_float_round_mode_16_64 0
		.amdhsa_float_denorm_mode_32 3
		.amdhsa_float_denorm_mode_16_64 3
		.amdhsa_fp16_overflow 0
		.amdhsa_memory_ordered 1
		.amdhsa_forward_progress 1
		.amdhsa_inst_pref_size 3
		.amdhsa_round_robin_scheduling 0
		.amdhsa_exception_fp_ieee_invalid_op 0
		.amdhsa_exception_fp_denorm_src 0
		.amdhsa_exception_fp_ieee_div_zero 0
		.amdhsa_exception_fp_ieee_overflow 0
		.amdhsa_exception_fp_ieee_underflow 0
		.amdhsa_exception_fp_ieee_inexact 0
		.amdhsa_exception_int_div_zero 0
	.end_amdhsa_kernel
	.section	.text._ZL19rocblas_scal_kernelIiLi256E19rocblas_complex_numIfES1_S1_PS1_EviT3_lT4_lT_li,"axG",@progbits,_ZL19rocblas_scal_kernelIiLi256E19rocblas_complex_numIfES1_S1_PS1_EviT3_lT4_lT_li,comdat
.Lfunc_end139:
	.size	_ZL19rocblas_scal_kernelIiLi256E19rocblas_complex_numIfES1_S1_PS1_EviT3_lT4_lT_li, .Lfunc_end139-_ZL19rocblas_scal_kernelIiLi256E19rocblas_complex_numIfES1_S1_PS1_EviT3_lT4_lT_li
                                        ; -- End function
	.set _ZL19rocblas_scal_kernelIiLi256E19rocblas_complex_numIfES1_S1_PS1_EviT3_lT4_lT_li.num_vgpr, 12
	.set _ZL19rocblas_scal_kernelIiLi256E19rocblas_complex_numIfES1_S1_PS1_EviT3_lT4_lT_li.num_agpr, 0
	.set _ZL19rocblas_scal_kernelIiLi256E19rocblas_complex_numIfES1_S1_PS1_EviT3_lT4_lT_li.numbered_sgpr, 17
	.set _ZL19rocblas_scal_kernelIiLi256E19rocblas_complex_numIfES1_S1_PS1_EviT3_lT4_lT_li.num_named_barrier, 0
	.set _ZL19rocblas_scal_kernelIiLi256E19rocblas_complex_numIfES1_S1_PS1_EviT3_lT4_lT_li.private_seg_size, 0
	.set _ZL19rocblas_scal_kernelIiLi256E19rocblas_complex_numIfES1_S1_PS1_EviT3_lT4_lT_li.uses_vcc, 1
	.set _ZL19rocblas_scal_kernelIiLi256E19rocblas_complex_numIfES1_S1_PS1_EviT3_lT4_lT_li.uses_flat_scratch, 0
	.set _ZL19rocblas_scal_kernelIiLi256E19rocblas_complex_numIfES1_S1_PS1_EviT3_lT4_lT_li.has_dyn_sized_stack, 0
	.set _ZL19rocblas_scal_kernelIiLi256E19rocblas_complex_numIfES1_S1_PS1_EviT3_lT4_lT_li.has_recursion, 0
	.set _ZL19rocblas_scal_kernelIiLi256E19rocblas_complex_numIfES1_S1_PS1_EviT3_lT4_lT_li.has_indirect_call, 0
	.section	.AMDGPU.csdata,"",@progbits
; Kernel info:
; codeLenInByte = 356
; TotalNumSgprs: 19
; NumVgprs: 12
; ScratchSize: 0
; MemoryBound: 0
; FloatMode: 240
; IeeeMode: 1
; LDSByteSize: 0 bytes/workgroup (compile time only)
; SGPRBlocks: 0
; VGPRBlocks: 0
; NumSGPRsForWavesPerEU: 19
; NumVGPRsForWavesPerEU: 12
; NamedBarCnt: 0
; Occupancy: 16
; WaveLimiterHint : 0
; COMPUTE_PGM_RSRC2:SCRATCH_EN: 0
; COMPUTE_PGM_RSRC2:USER_SGPR: 2
; COMPUTE_PGM_RSRC2:TRAP_HANDLER: 0
; COMPUTE_PGM_RSRC2:TGID_X_EN: 1
; COMPUTE_PGM_RSRC2:TGID_Y_EN: 0
; COMPUTE_PGM_RSRC2:TGID_Z_EN: 1
; COMPUTE_PGM_RSRC2:TIDIG_COMP_CNT: 0
	.section	.text._ZL19rocblas_scal_kernelIlLi256E19rocblas_complex_numIfES1_PKS1_PS1_EviT3_lT4_lT_li,"axG",@progbits,_ZL19rocblas_scal_kernelIlLi256E19rocblas_complex_numIfES1_PKS1_PS1_EviT3_lT4_lT_li,comdat
	.globl	_ZL19rocblas_scal_kernelIlLi256E19rocblas_complex_numIfES1_PKS1_PS1_EviT3_lT4_lT_li ; -- Begin function _ZL19rocblas_scal_kernelIlLi256E19rocblas_complex_numIfES1_PKS1_PS1_EviT3_lT4_lT_li
	.p2align	8
	.type	_ZL19rocblas_scal_kernelIlLi256E19rocblas_complex_numIfES1_PKS1_PS1_EviT3_lT4_lT_li,@function
_ZL19rocblas_scal_kernelIlLi256E19rocblas_complex_numIfES1_PKS1_PS1_EviT3_lT4_lT_li: ; @_ZL19rocblas_scal_kernelIlLi256E19rocblas_complex_numIfES1_PKS1_PS1_EviT3_lT4_lT_li
; %bb.0:
	s_load_b32 s16, s[0:1], 0x38
	s_bfe_u32 s2, ttmp6, 0x40014
	s_lshr_b32 s3, ttmp7, 16
	s_add_co_i32 s2, s2, 1
	s_bfe_u32 s4, ttmp6, 0x40008
	s_mul_i32 s2, s3, s2
	s_getreg_b32 s17, hwreg(HW_REG_IB_STS2, 6, 4)
	s_add_co_i32 s4, s4, s2
	s_cmp_eq_u32 s17, 0
	s_cselect_b32 s2, s3, s4
	s_mov_b32 s3, 0
	s_wait_kmcnt 0x0
	s_cmp_ge_u32 s2, s16
	s_cbranch_scc1 .LBB140_5
; %bb.1:
	s_clause 0x1
	s_load_b256 s[4:11], s[0:1], 0x8
	s_load_b128 s[12:15], s[0:1], 0x28
	s_bfe_u32 s18, ttmp6, 0x4000c
	s_and_b32 s19, ttmp6, 15
	s_add_co_i32 s18, s18, 1
	v_mov_b32_e32 v1, 0
	s_mul_i32 s18, ttmp9, s18
	s_delay_alu instid0(SALU_CYCLE_1) | instskip(SKIP_4) | instid1(SALU_CYCLE_1)
	s_add_co_i32 s19, s19, s18
	s_wait_kmcnt 0x0
	s_lshl_b64 s[10:11], s[10:11], 3
	s_cmp_eq_u32 s17, 0
	s_cselect_b32 s17, ttmp9, s19
	v_lshl_or_b32 v0, s17, 8, v0
	s_delay_alu instid0(VALU_DEP_1)
	v_mul_u64_e32 v[2:3], s[12:13], v[0:1]
	s_load_b32 s12, s[0:1], 0x0
	s_wait_xcnt 0x0
	s_add_nc_u64 s[0:1], s[8:9], s[10:11]
	s_wait_kmcnt 0x0
	v_cmp_gt_u32_e32 vcc_lo, s12, v0
	s_delay_alu instid0(VALU_DEP_2)
	v_lshl_add_u64 v[2:3], v[2:3], 3, s[0:1]
	s_branch .LBB140_3
.LBB140_2:                              ;   in Loop: Header=BB140_3 Depth=1
	s_wait_xcnt 0x0
	s_or_b32 exec_lo, exec_lo, s0
	s_add_co_i32 s2, s2, 0x10000
	s_delay_alu instid0(SALU_CYCLE_1)
	s_cmp_lt_u32 s2, s16
	s_cbranch_scc0 .LBB140_5
.LBB140_3:                              ; =>This Inner Loop Header: Depth=1
	s_mul_u64 s[0:1], s[6:7], s[2:3]
	s_delay_alu instid0(SALU_CYCLE_1) | instskip(NEXT) | instid1(SALU_CYCLE_1)
	s_lshl_b64 s[0:1], s[0:1], 3
	s_add_nc_u64 s[0:1], s[4:5], s[0:1]
	global_load_b64 v[4:5], v1, s[0:1]
	s_wait_loadcnt 0x0
	s_wait_xcnt 0x0
	v_cmp_neq_f32_e64 s0, 1.0, v4
	v_cmp_neq_f32_e64 s1, 0, v5
	s_or_b32 s0, s0, s1
	s_delay_alu instid0(SALU_CYCLE_1) | instskip(NEXT) | instid1(SALU_CYCLE_1)
	s_and_b32 s1, vcc_lo, s0
	s_and_saveexec_b32 s0, s1
	s_cbranch_execz .LBB140_2
; %bb.4:                                ;   in Loop: Header=BB140_3 Depth=1
	s_mul_u64 s[8:9], s[14:15], s[2:3]
	s_delay_alu instid0(SALU_CYCLE_1) | instskip(SKIP_3) | instid1(VALU_DEP_1)
	v_lshl_add_u64 v[6:7], s[8:9], 3, v[2:3]
	global_load_b64 v[8:9], v[6:7], off
	s_wait_loadcnt 0x0
	v_pk_mul_f32 v[10:11], v[4:5], v[8:9] op_sel:[1,1] op_sel_hi:[0,1]
	v_pk_fma_f32 v[12:13], v[4:5], v[8:9], v[10:11] op_sel_hi:[1,0,1]
	v_pk_fma_f32 v[4:5], v[4:5], v[8:9], v[10:11] neg_lo:[0,0,1] neg_hi:[0,0,1]
	s_delay_alu instid0(VALU_DEP_2)
	v_mov_b32_e32 v5, v13
	global_store_b64 v[6:7], v[4:5], off
	s_branch .LBB140_2
.LBB140_5:
	s_endpgm
	.section	.rodata,"a",@progbits
	.p2align	6, 0x0
	.amdhsa_kernel _ZL19rocblas_scal_kernelIlLi256E19rocblas_complex_numIfES1_PKS1_PS1_EviT3_lT4_lT_li
		.amdhsa_group_segment_fixed_size 0
		.amdhsa_private_segment_fixed_size 0
		.amdhsa_kernarg_size 60
		.amdhsa_user_sgpr_count 2
		.amdhsa_user_sgpr_dispatch_ptr 0
		.amdhsa_user_sgpr_queue_ptr 0
		.amdhsa_user_sgpr_kernarg_segment_ptr 1
		.amdhsa_user_sgpr_dispatch_id 0
		.amdhsa_user_sgpr_kernarg_preload_length 0
		.amdhsa_user_sgpr_kernarg_preload_offset 0
		.amdhsa_user_sgpr_private_segment_size 0
		.amdhsa_wavefront_size32 1
		.amdhsa_uses_dynamic_stack 0
		.amdhsa_enable_private_segment 0
		.amdhsa_system_sgpr_workgroup_id_x 1
		.amdhsa_system_sgpr_workgroup_id_y 0
		.amdhsa_system_sgpr_workgroup_id_z 1
		.amdhsa_system_sgpr_workgroup_info 0
		.amdhsa_system_vgpr_workitem_id 0
		.amdhsa_next_free_vgpr 14
		.amdhsa_next_free_sgpr 20
		.amdhsa_named_barrier_count 0
		.amdhsa_reserve_vcc 1
		.amdhsa_float_round_mode_32 0
		.amdhsa_float_round_mode_16_64 0
		.amdhsa_float_denorm_mode_32 3
		.amdhsa_float_denorm_mode_16_64 3
		.amdhsa_fp16_overflow 0
		.amdhsa_memory_ordered 1
		.amdhsa_forward_progress 1
		.amdhsa_inst_pref_size 3
		.amdhsa_round_robin_scheduling 0
		.amdhsa_exception_fp_ieee_invalid_op 0
		.amdhsa_exception_fp_denorm_src 0
		.amdhsa_exception_fp_ieee_div_zero 0
		.amdhsa_exception_fp_ieee_overflow 0
		.amdhsa_exception_fp_ieee_underflow 0
		.amdhsa_exception_fp_ieee_inexact 0
		.amdhsa_exception_int_div_zero 0
	.end_amdhsa_kernel
	.section	.text._ZL19rocblas_scal_kernelIlLi256E19rocblas_complex_numIfES1_PKS1_PS1_EviT3_lT4_lT_li,"axG",@progbits,_ZL19rocblas_scal_kernelIlLi256E19rocblas_complex_numIfES1_PKS1_PS1_EviT3_lT4_lT_li,comdat
.Lfunc_end140:
	.size	_ZL19rocblas_scal_kernelIlLi256E19rocblas_complex_numIfES1_PKS1_PS1_EviT3_lT4_lT_li, .Lfunc_end140-_ZL19rocblas_scal_kernelIlLi256E19rocblas_complex_numIfES1_PKS1_PS1_EviT3_lT4_lT_li
                                        ; -- End function
	.set _ZL19rocblas_scal_kernelIlLi256E19rocblas_complex_numIfES1_PKS1_PS1_EviT3_lT4_lT_li.num_vgpr, 14
	.set _ZL19rocblas_scal_kernelIlLi256E19rocblas_complex_numIfES1_PKS1_PS1_EviT3_lT4_lT_li.num_agpr, 0
	.set _ZL19rocblas_scal_kernelIlLi256E19rocblas_complex_numIfES1_PKS1_PS1_EviT3_lT4_lT_li.numbered_sgpr, 20
	.set _ZL19rocblas_scal_kernelIlLi256E19rocblas_complex_numIfES1_PKS1_PS1_EviT3_lT4_lT_li.num_named_barrier, 0
	.set _ZL19rocblas_scal_kernelIlLi256E19rocblas_complex_numIfES1_PKS1_PS1_EviT3_lT4_lT_li.private_seg_size, 0
	.set _ZL19rocblas_scal_kernelIlLi256E19rocblas_complex_numIfES1_PKS1_PS1_EviT3_lT4_lT_li.uses_vcc, 1
	.set _ZL19rocblas_scal_kernelIlLi256E19rocblas_complex_numIfES1_PKS1_PS1_EviT3_lT4_lT_li.uses_flat_scratch, 0
	.set _ZL19rocblas_scal_kernelIlLi256E19rocblas_complex_numIfES1_PKS1_PS1_EviT3_lT4_lT_li.has_dyn_sized_stack, 0
	.set _ZL19rocblas_scal_kernelIlLi256E19rocblas_complex_numIfES1_PKS1_PS1_EviT3_lT4_lT_li.has_recursion, 0
	.set _ZL19rocblas_scal_kernelIlLi256E19rocblas_complex_numIfES1_PKS1_PS1_EviT3_lT4_lT_li.has_indirect_call, 0
	.section	.AMDGPU.csdata,"",@progbits
; Kernel info:
; codeLenInByte = 376
; TotalNumSgprs: 22
; NumVgprs: 14
; ScratchSize: 0
; MemoryBound: 0
; FloatMode: 240
; IeeeMode: 1
; LDSByteSize: 0 bytes/workgroup (compile time only)
; SGPRBlocks: 0
; VGPRBlocks: 0
; NumSGPRsForWavesPerEU: 22
; NumVGPRsForWavesPerEU: 14
; NamedBarCnt: 0
; Occupancy: 16
; WaveLimiterHint : 0
; COMPUTE_PGM_RSRC2:SCRATCH_EN: 0
; COMPUTE_PGM_RSRC2:USER_SGPR: 2
; COMPUTE_PGM_RSRC2:TRAP_HANDLER: 0
; COMPUTE_PGM_RSRC2:TGID_X_EN: 1
; COMPUTE_PGM_RSRC2:TGID_Y_EN: 0
; COMPUTE_PGM_RSRC2:TGID_Z_EN: 1
; COMPUTE_PGM_RSRC2:TIDIG_COMP_CNT: 0
	.section	.text._ZL19rocblas_scal_kernelIlLi256E19rocblas_complex_numIfES1_S1_PS1_EviT3_lT4_lT_li,"axG",@progbits,_ZL19rocblas_scal_kernelIlLi256E19rocblas_complex_numIfES1_S1_PS1_EviT3_lT4_lT_li,comdat
	.globl	_ZL19rocblas_scal_kernelIlLi256E19rocblas_complex_numIfES1_S1_PS1_EviT3_lT4_lT_li ; -- Begin function _ZL19rocblas_scal_kernelIlLi256E19rocblas_complex_numIfES1_S1_PS1_EviT3_lT4_lT_li
	.p2align	8
	.type	_ZL19rocblas_scal_kernelIlLi256E19rocblas_complex_numIfES1_S1_PS1_EviT3_lT4_lT_li,@function
_ZL19rocblas_scal_kernelIlLi256E19rocblas_complex_numIfES1_S1_PS1_EviT3_lT4_lT_li: ; @_ZL19rocblas_scal_kernelIlLi256E19rocblas_complex_numIfES1_S1_PS1_EviT3_lT4_lT_li
; %bb.0:
	s_load_b32 s3, s[0:1], 0x38
	s_bfe_u32 s2, ttmp6, 0x40014
	s_lshr_b32 s4, ttmp7, 16
	s_add_co_i32 s2, s2, 1
	s_bfe_u32 s6, ttmp6, 0x40008
	s_mul_i32 s5, s4, s2
	s_getreg_b32 s2, hwreg(HW_REG_IB_STS2, 6, 4)
	s_add_co_i32 s6, s6, s5
	s_cmp_eq_u32 s2, 0
	s_mov_b32 s13, 0
	s_cselect_b32 s12, s4, s6
	s_wait_kmcnt 0x0
	s_cmp_ge_u32 s12, s3
	s_cbranch_scc1 .LBB141_5
; %bb.1:
	s_load_b256 s[4:11], s[0:1], 0x18
	s_bfe_u32 s14, ttmp6, 0x4000c
	s_and_b32 s15, ttmp6, 15
	s_add_co_i32 s14, s14, 1
	v_mov_b32_e32 v1, 0
	s_mul_i32 s14, ttmp9, s14
	s_delay_alu instid0(SALU_CYCLE_1)
	s_add_co_i32 s16, s15, s14
	s_wait_kmcnt 0x0
	s_lshl_b64 s[14:15], s[6:7], 3
	s_cmp_eq_u32 s2, 0
	s_add_nc_u64 s[4:5], s[4:5], s[14:15]
	s_cselect_b32 s2, ttmp9, s16
	s_delay_alu instid0(SALU_CYCLE_1) | instskip(SKIP_1) | instid1(VALU_DEP_1)
	v_lshl_or_b32 v0, s2, 8, v0
	s_load_b96 s[0:2], s[0:1], 0x0
	v_mul_u64_e32 v[2:3], s[8:9], v[0:1]
	s_wait_kmcnt 0x0
	s_cmp_neq_f32 s1, 1.0
	v_cmp_gt_u32_e32 vcc_lo, s0, v0
	s_mov_b32 s6, s1
	s_cselect_b32 s7, -1, 0
	s_cmp_neq_f32 s2, 0
	s_cselect_b32 s8, -1, 0
	s_delay_alu instid0(SALU_CYCLE_1) | instskip(SKIP_1) | instid1(VALU_DEP_2)
	s_or_b32 s0, s7, s8
	s_mov_b32 s7, s2
	v_lshl_add_u64 v[0:1], v[2:3], 3, s[4:5]
	s_and_b32 s4, vcc_lo, s0
	s_mov_b32 s0, s2
	s_branch .LBB141_3
.LBB141_2:                              ;   in Loop: Header=BB141_3 Depth=1
	s_wait_xcnt 0x0
	s_or_b32 exec_lo, exec_lo, s2
	s_add_co_i32 s12, s12, 0x10000
	s_delay_alu instid0(SALU_CYCLE_1)
	s_cmp_lt_u32 s12, s3
	s_cbranch_scc0 .LBB141_5
.LBB141_3:                              ; =>This Inner Loop Header: Depth=1
	s_and_saveexec_b32 s2, s4
	s_cbranch_execz .LBB141_2
; %bb.4:                                ;   in Loop: Header=BB141_3 Depth=1
	s_mul_u64 s[8:9], s[10:11], s[12:13]
	v_mov_b64_e32 v[6:7], s[0:1]
	v_lshl_add_u64 v[2:3], s[8:9], 3, v[0:1]
	v_mov_b64_e32 v[8:9], s[6:7]
	global_load_b64 v[4:5], v[2:3], off
	s_wait_loadcnt 0x0
	v_pk_mul_f32 v[6:7], v[6:7], v[4:5] op_sel:[0,1]
	s_delay_alu instid0(VALU_DEP_1) | instskip(SKIP_1) | instid1(VALU_DEP_2)
	v_pk_fma_f32 v[10:11], v[8:9], v[4:5], v[6:7] op_sel_hi:[1,0,1]
	v_pk_fma_f32 v[4:5], v[8:9], v[4:5], v[6:7] neg_lo:[0,0,1] neg_hi:[0,0,1]
	v_mov_b32_e32 v5, v11
	global_store_b64 v[2:3], v[4:5], off
	s_branch .LBB141_2
.LBB141_5:
	s_endpgm
	.section	.rodata,"a",@progbits
	.p2align	6, 0x0
	.amdhsa_kernel _ZL19rocblas_scal_kernelIlLi256E19rocblas_complex_numIfES1_S1_PS1_EviT3_lT4_lT_li
		.amdhsa_group_segment_fixed_size 0
		.amdhsa_private_segment_fixed_size 0
		.amdhsa_kernarg_size 60
		.amdhsa_user_sgpr_count 2
		.amdhsa_user_sgpr_dispatch_ptr 0
		.amdhsa_user_sgpr_queue_ptr 0
		.amdhsa_user_sgpr_kernarg_segment_ptr 1
		.amdhsa_user_sgpr_dispatch_id 0
		.amdhsa_user_sgpr_kernarg_preload_length 0
		.amdhsa_user_sgpr_kernarg_preload_offset 0
		.amdhsa_user_sgpr_private_segment_size 0
		.amdhsa_wavefront_size32 1
		.amdhsa_uses_dynamic_stack 0
		.amdhsa_enable_private_segment 0
		.amdhsa_system_sgpr_workgroup_id_x 1
		.amdhsa_system_sgpr_workgroup_id_y 0
		.amdhsa_system_sgpr_workgroup_id_z 1
		.amdhsa_system_sgpr_workgroup_info 0
		.amdhsa_system_vgpr_workitem_id 0
		.amdhsa_next_free_vgpr 12
		.amdhsa_next_free_sgpr 17
		.amdhsa_named_barrier_count 0
		.amdhsa_reserve_vcc 1
		.amdhsa_float_round_mode_32 0
		.amdhsa_float_round_mode_16_64 0
		.amdhsa_float_denorm_mode_32 3
		.amdhsa_float_denorm_mode_16_64 3
		.amdhsa_fp16_overflow 0
		.amdhsa_memory_ordered 1
		.amdhsa_forward_progress 1
		.amdhsa_inst_pref_size 3
		.amdhsa_round_robin_scheduling 0
		.amdhsa_exception_fp_ieee_invalid_op 0
		.amdhsa_exception_fp_denorm_src 0
		.amdhsa_exception_fp_ieee_div_zero 0
		.amdhsa_exception_fp_ieee_overflow 0
		.amdhsa_exception_fp_ieee_underflow 0
		.amdhsa_exception_fp_ieee_inexact 0
		.amdhsa_exception_int_div_zero 0
	.end_amdhsa_kernel
	.section	.text._ZL19rocblas_scal_kernelIlLi256E19rocblas_complex_numIfES1_S1_PS1_EviT3_lT4_lT_li,"axG",@progbits,_ZL19rocblas_scal_kernelIlLi256E19rocblas_complex_numIfES1_S1_PS1_EviT3_lT4_lT_li,comdat
.Lfunc_end141:
	.size	_ZL19rocblas_scal_kernelIlLi256E19rocblas_complex_numIfES1_S1_PS1_EviT3_lT4_lT_li, .Lfunc_end141-_ZL19rocblas_scal_kernelIlLi256E19rocblas_complex_numIfES1_S1_PS1_EviT3_lT4_lT_li
                                        ; -- End function
	.set _ZL19rocblas_scal_kernelIlLi256E19rocblas_complex_numIfES1_S1_PS1_EviT3_lT4_lT_li.num_vgpr, 12
	.set _ZL19rocblas_scal_kernelIlLi256E19rocblas_complex_numIfES1_S1_PS1_EviT3_lT4_lT_li.num_agpr, 0
	.set _ZL19rocblas_scal_kernelIlLi256E19rocblas_complex_numIfES1_S1_PS1_EviT3_lT4_lT_li.numbered_sgpr, 17
	.set _ZL19rocblas_scal_kernelIlLi256E19rocblas_complex_numIfES1_S1_PS1_EviT3_lT4_lT_li.num_named_barrier, 0
	.set _ZL19rocblas_scal_kernelIlLi256E19rocblas_complex_numIfES1_S1_PS1_EviT3_lT4_lT_li.private_seg_size, 0
	.set _ZL19rocblas_scal_kernelIlLi256E19rocblas_complex_numIfES1_S1_PS1_EviT3_lT4_lT_li.uses_vcc, 1
	.set _ZL19rocblas_scal_kernelIlLi256E19rocblas_complex_numIfES1_S1_PS1_EviT3_lT4_lT_li.uses_flat_scratch, 0
	.set _ZL19rocblas_scal_kernelIlLi256E19rocblas_complex_numIfES1_S1_PS1_EviT3_lT4_lT_li.has_dyn_sized_stack, 0
	.set _ZL19rocblas_scal_kernelIlLi256E19rocblas_complex_numIfES1_S1_PS1_EviT3_lT4_lT_li.has_recursion, 0
	.set _ZL19rocblas_scal_kernelIlLi256E19rocblas_complex_numIfES1_S1_PS1_EviT3_lT4_lT_li.has_indirect_call, 0
	.section	.AMDGPU.csdata,"",@progbits
; Kernel info:
; codeLenInByte = 336
; TotalNumSgprs: 19
; NumVgprs: 12
; ScratchSize: 0
; MemoryBound: 0
; FloatMode: 240
; IeeeMode: 1
; LDSByteSize: 0 bytes/workgroup (compile time only)
; SGPRBlocks: 0
; VGPRBlocks: 0
; NumSGPRsForWavesPerEU: 19
; NumVGPRsForWavesPerEU: 12
; NamedBarCnt: 0
; Occupancy: 16
; WaveLimiterHint : 0
; COMPUTE_PGM_RSRC2:SCRATCH_EN: 0
; COMPUTE_PGM_RSRC2:USER_SGPR: 2
; COMPUTE_PGM_RSRC2:TRAP_HANDLER: 0
; COMPUTE_PGM_RSRC2:TGID_X_EN: 1
; COMPUTE_PGM_RSRC2:TGID_Y_EN: 0
; COMPUTE_PGM_RSRC2:TGID_Z_EN: 1
; COMPUTE_PGM_RSRC2:TIDIG_COMP_CNT: 0
	.section	.text._ZL22rocblas_sscal_2_kernelILi256E19rocblas_complex_numIfES1_PKS1_PKPS1_EviT2_lT3_lli,"axG",@progbits,_ZL22rocblas_sscal_2_kernelILi256E19rocblas_complex_numIfES1_PKS1_PKPS1_EviT2_lT3_lli,comdat
	.globl	_ZL22rocblas_sscal_2_kernelILi256E19rocblas_complex_numIfES1_PKS1_PKPS1_EviT2_lT3_lli ; -- Begin function _ZL22rocblas_sscal_2_kernelILi256E19rocblas_complex_numIfES1_PKS1_PKPS1_EviT2_lT3_lli
	.p2align	8
	.type	_ZL22rocblas_sscal_2_kernelILi256E19rocblas_complex_numIfES1_PKS1_PKPS1_EviT2_lT3_lli,@function
_ZL22rocblas_sscal_2_kernelILi256E19rocblas_complex_numIfES1_PKS1_PKPS1_EviT2_lT3_lli: ; @_ZL22rocblas_sscal_2_kernelILi256E19rocblas_complex_numIfES1_PKS1_PKPS1_EviT2_lT3_lli
; %bb.0:
	s_load_b32 s12, s[0:1], 0x30
	s_bfe_u32 s2, ttmp6, 0x40014
	s_lshr_b32 s3, ttmp7, 16
	s_add_co_i32 s2, s2, 1
	s_bfe_u32 s4, ttmp6, 0x40008
	s_mul_i32 s2, s3, s2
	s_getreg_b32 s13, hwreg(HW_REG_IB_STS2, 6, 4)
	s_add_co_i32 s4, s4, s2
	s_cmp_eq_u32 s13, 0
	s_cselect_b32 s2, s3, s4
	s_mov_b32 s3, 0
	s_wait_kmcnt 0x0
	s_cmp_ge_u32 s2, s12
	s_cbranch_scc1 .LBB142_9
; %bb.1:
	s_load_b32 s14, s[0:1], 0x0
	s_bfe_u32 s15, ttmp6, 0x4000c
	s_load_b256 s[4:11], s[0:1], 0x8
	s_add_co_i32 s15, s15, 1
	s_wait_xcnt 0x0
	s_and_b32 s0, ttmp6, 15
	s_mul_i32 s1, ttmp9, s15
	v_dual_mov_b32 v1, 0 :: v_dual_lshlrev_b32 v0, 1, v0
	s_add_co_i32 s0, s0, s1
	s_cmp_eq_u32 s13, 0
	s_cselect_b32 s0, ttmp9, s0
	s_delay_alu instid0(VALU_DEP_1) | instid1(SALU_CYCLE_1)
	v_lshl_or_b32 v0, s0, 9, v0
	s_delay_alu instid0(VALU_DEP_1)
	v_or_b32_e32 v2, 1, v0
	s_wait_kmcnt 0x0
	s_bitcmp1_b32 s14, 0
	s_cselect_b32 s1, -1, 0
	s_add_co_i32 s0, s14, -1
	s_lshl_b64 s[10:11], s[10:11], 3
	v_cmp_eq_u32_e32 vcc_lo, s0, v0
	v_cmp_gt_u32_e64 s0, s14, v2
	s_and_b32 s13, s1, vcc_lo
	s_branch .LBB142_4
.LBB142_2:                              ;   in Loop: Header=BB142_4 Depth=1
	s_wait_xcnt 0x0
	s_or_b32 exec_lo, exec_lo, s1
.LBB142_3:                              ;   in Loop: Header=BB142_4 Depth=1
	s_add_co_i32 s2, s2, 0x10000
	s_delay_alu instid0(SALU_CYCLE_1)
	s_cmp_lt_u32 s2, s12
	s_cbranch_scc0 .LBB142_9
.LBB142_4:                              ; =>This Inner Loop Header: Depth=1
	s_wait_xcnt 0x0
	s_mul_u64 s[14:15], s[6:7], s[2:3]
	s_delay_alu instid0(SALU_CYCLE_1) | instskip(NEXT) | instid1(SALU_CYCLE_1)
	s_lshl_b64 s[14:15], s[14:15], 3
	s_add_nc_u64 s[14:15], s[4:5], s[14:15]
	global_load_b64 v[2:3], v1, s[14:15]
	s_wait_loadcnt 0x0
	v_cmp_neq_f32_e32 vcc_lo, 1.0, v2
	v_cmp_neq_f32_e64 s1, 0, v3
	s_or_b32 s1, vcc_lo, s1
	s_delay_alu instid0(SALU_CYCLE_1)
	s_and_not1_b32 vcc_lo, exec_lo, s1
	s_cbranch_vccnz .LBB142_3
; %bb.5:                                ;   in Loop: Header=BB142_4 Depth=1
	s_wait_xcnt 0x0
	s_lshl_b64 s[14:15], s[2:3], 3
	s_delay_alu instid0(SALU_CYCLE_1) | instskip(SKIP_4) | instid1(SALU_CYCLE_1)
	s_add_nc_u64 s[14:15], s[8:9], s[14:15]
	s_load_b64 s[14:15], s[14:15], 0x0
	s_wait_kmcnt 0x0
	s_wait_xcnt 0x0
	s_add_nc_u64 s[14:15], s[14:15], s[10:11]
	v_lshl_add_u64 v[4:5], v[0:1], 3, s[14:15]
	s_and_saveexec_b32 s1, s0
	s_cbranch_execz .LBB142_7
; %bb.6:                                ;   in Loop: Header=BB142_4 Depth=1
	flat_load_b128 v[6:9], v[4:5]
	s_wait_loadcnt_dscnt 0x0
	v_pk_mul_f32 v[12:13], v[2:3], v[6:7] op_sel:[1,1] op_sel_hi:[0,1]
	s_delay_alu instid0(VALU_DEP_1) | instskip(SKIP_2) | instid1(VALU_DEP_3)
	v_pk_fma_f32 v[14:15], v[2:3], v[6:7], v[12:13] op_sel_hi:[1,0,1]
	v_mov_b32_e32 v10, v9
	v_pk_fma_f32 v[6:7], v[2:3], v[6:7], v[12:13] neg_lo:[0,0,1] neg_hi:[0,0,1]
	v_mov_b32_e32 v7, v15
	s_delay_alu instid0(VALU_DEP_3) | instskip(NEXT) | instid1(VALU_DEP_1)
	v_pk_mul_f32 v[10:11], v[2:3], v[10:11] op_sel:[1,0] op_sel_hi:[0,0]
	v_pk_fma_f32 v[16:17], v[2:3], v[8:9], v[10:11] op_sel_hi:[1,0,1]
	v_pk_fma_f32 v[8:9], v[2:3], v[8:9], v[10:11] neg_lo:[0,0,1] neg_hi:[0,0,1]
	s_delay_alu instid0(VALU_DEP_2)
	v_mov_b32_e32 v9, v17
	flat_store_b128 v[4:5], v[6:9]
.LBB142_7:                              ;   in Loop: Header=BB142_4 Depth=1
	s_wait_xcnt 0x0
	s_or_b32 exec_lo, exec_lo, s1
	s_and_saveexec_b32 s1, s13
	s_cbranch_execz .LBB142_2
; %bb.8:                                ;   in Loop: Header=BB142_4 Depth=1
	flat_load_b64 v[6:7], v[4:5]
	s_wait_loadcnt_dscnt 0x0
	v_pk_mul_f32 v[8:9], v[2:3], v[6:7] op_sel:[1,1] op_sel_hi:[0,1]
	s_delay_alu instid0(VALU_DEP_1) | instskip(SKIP_1) | instid1(VALU_DEP_2)
	v_pk_fma_f32 v[10:11], v[2:3], v[6:7], v[8:9] op_sel_hi:[1,0,1]
	v_pk_fma_f32 v[2:3], v[2:3], v[6:7], v[8:9] neg_lo:[0,0,1] neg_hi:[0,0,1]
	v_mov_b32_e32 v3, v11
	flat_store_b64 v[4:5], v[2:3]
	s_branch .LBB142_2
.LBB142_9:
	s_endpgm
	.section	.rodata,"a",@progbits
	.p2align	6, 0x0
	.amdhsa_kernel _ZL22rocblas_sscal_2_kernelILi256E19rocblas_complex_numIfES1_PKS1_PKPS1_EviT2_lT3_lli
		.amdhsa_group_segment_fixed_size 0
		.amdhsa_private_segment_fixed_size 0
		.amdhsa_kernarg_size 52
		.amdhsa_user_sgpr_count 2
		.amdhsa_user_sgpr_dispatch_ptr 0
		.amdhsa_user_sgpr_queue_ptr 0
		.amdhsa_user_sgpr_kernarg_segment_ptr 1
		.amdhsa_user_sgpr_dispatch_id 0
		.amdhsa_user_sgpr_kernarg_preload_length 0
		.amdhsa_user_sgpr_kernarg_preload_offset 0
		.amdhsa_user_sgpr_private_segment_size 0
		.amdhsa_wavefront_size32 1
		.amdhsa_uses_dynamic_stack 0
		.amdhsa_enable_private_segment 0
		.amdhsa_system_sgpr_workgroup_id_x 1
		.amdhsa_system_sgpr_workgroup_id_y 0
		.amdhsa_system_sgpr_workgroup_id_z 1
		.amdhsa_system_sgpr_workgroup_info 0
		.amdhsa_system_vgpr_workitem_id 0
		.amdhsa_next_free_vgpr 18
		.amdhsa_next_free_sgpr 16
		.amdhsa_named_barrier_count 0
		.amdhsa_reserve_vcc 1
		.amdhsa_float_round_mode_32 0
		.amdhsa_float_round_mode_16_64 0
		.amdhsa_float_denorm_mode_32 3
		.amdhsa_float_denorm_mode_16_64 3
		.amdhsa_fp16_overflow 0
		.amdhsa_memory_ordered 1
		.amdhsa_forward_progress 1
		.amdhsa_inst_pref_size 5
		.amdhsa_round_robin_scheduling 0
		.amdhsa_exception_fp_ieee_invalid_op 0
		.amdhsa_exception_fp_denorm_src 0
		.amdhsa_exception_fp_ieee_div_zero 0
		.amdhsa_exception_fp_ieee_overflow 0
		.amdhsa_exception_fp_ieee_underflow 0
		.amdhsa_exception_fp_ieee_inexact 0
		.amdhsa_exception_int_div_zero 0
	.end_amdhsa_kernel
	.section	.text._ZL22rocblas_sscal_2_kernelILi256E19rocblas_complex_numIfES1_PKS1_PKPS1_EviT2_lT3_lli,"axG",@progbits,_ZL22rocblas_sscal_2_kernelILi256E19rocblas_complex_numIfES1_PKS1_PKPS1_EviT2_lT3_lli,comdat
.Lfunc_end142:
	.size	_ZL22rocblas_sscal_2_kernelILi256E19rocblas_complex_numIfES1_PKS1_PKPS1_EviT2_lT3_lli, .Lfunc_end142-_ZL22rocblas_sscal_2_kernelILi256E19rocblas_complex_numIfES1_PKS1_PKPS1_EviT2_lT3_lli
                                        ; -- End function
	.set _ZL22rocblas_sscal_2_kernelILi256E19rocblas_complex_numIfES1_PKS1_PKPS1_EviT2_lT3_lli.num_vgpr, 18
	.set _ZL22rocblas_sscal_2_kernelILi256E19rocblas_complex_numIfES1_PKS1_PKPS1_EviT2_lT3_lli.num_agpr, 0
	.set _ZL22rocblas_sscal_2_kernelILi256E19rocblas_complex_numIfES1_PKS1_PKPS1_EviT2_lT3_lli.numbered_sgpr, 16
	.set _ZL22rocblas_sscal_2_kernelILi256E19rocblas_complex_numIfES1_PKS1_PKPS1_EviT2_lT3_lli.num_named_barrier, 0
	.set _ZL22rocblas_sscal_2_kernelILi256E19rocblas_complex_numIfES1_PKS1_PKPS1_EviT2_lT3_lli.private_seg_size, 0
	.set _ZL22rocblas_sscal_2_kernelILi256E19rocblas_complex_numIfES1_PKS1_PKPS1_EviT2_lT3_lli.uses_vcc, 1
	.set _ZL22rocblas_sscal_2_kernelILi256E19rocblas_complex_numIfES1_PKS1_PKPS1_EviT2_lT3_lli.uses_flat_scratch, 0
	.set _ZL22rocblas_sscal_2_kernelILi256E19rocblas_complex_numIfES1_PKS1_PKPS1_EviT2_lT3_lli.has_dyn_sized_stack, 0
	.set _ZL22rocblas_sscal_2_kernelILi256E19rocblas_complex_numIfES1_PKS1_PKPS1_EviT2_lT3_lli.has_recursion, 0
	.set _ZL22rocblas_sscal_2_kernelILi256E19rocblas_complex_numIfES1_PKS1_PKPS1_EviT2_lT3_lli.has_indirect_call, 0
	.section	.AMDGPU.csdata,"",@progbits
; Kernel info:
; codeLenInByte = 516
; TotalNumSgprs: 18
; NumVgprs: 18
; ScratchSize: 0
; MemoryBound: 0
; FloatMode: 240
; IeeeMode: 1
; LDSByteSize: 0 bytes/workgroup (compile time only)
; SGPRBlocks: 0
; VGPRBlocks: 1
; NumSGPRsForWavesPerEU: 18
; NumVGPRsForWavesPerEU: 18
; NamedBarCnt: 0
; Occupancy: 16
; WaveLimiterHint : 1
; COMPUTE_PGM_RSRC2:SCRATCH_EN: 0
; COMPUTE_PGM_RSRC2:USER_SGPR: 2
; COMPUTE_PGM_RSRC2:TRAP_HANDLER: 0
; COMPUTE_PGM_RSRC2:TGID_X_EN: 1
; COMPUTE_PGM_RSRC2:TGID_Y_EN: 0
; COMPUTE_PGM_RSRC2:TGID_Z_EN: 1
; COMPUTE_PGM_RSRC2:TIDIG_COMP_CNT: 0
	.section	.text._ZL22rocblas_sscal_2_kernelILi256E19rocblas_complex_numIfES1_S1_PKPS1_EviT2_lT3_lli,"axG",@progbits,_ZL22rocblas_sscal_2_kernelILi256E19rocblas_complex_numIfES1_S1_PKPS1_EviT2_lT3_lli,comdat
	.globl	_ZL22rocblas_sscal_2_kernelILi256E19rocblas_complex_numIfES1_S1_PKPS1_EviT2_lT3_lli ; -- Begin function _ZL22rocblas_sscal_2_kernelILi256E19rocblas_complex_numIfES1_S1_PKPS1_EviT2_lT3_lli
	.p2align	8
	.type	_ZL22rocblas_sscal_2_kernelILi256E19rocblas_complex_numIfES1_S1_PKPS1_EviT2_lT3_lli,@function
_ZL22rocblas_sscal_2_kernelILi256E19rocblas_complex_numIfES1_S1_PKPS1_EviT2_lT3_lli: ; @_ZL22rocblas_sscal_2_kernelILi256E19rocblas_complex_numIfES1_S1_PKPS1_EviT2_lT3_lli
; %bb.0:
	s_load_b32 s11, s[0:1], 0x30
	s_bfe_u32 s2, ttmp6, 0x40014
	s_lshr_b32 s3, ttmp7, 16
	s_add_co_i32 s2, s2, 1
	s_bfe_u32 s5, ttmp6, 0x40008
	s_mul_i32 s4, s3, s2
	s_getreg_b32 s2, hwreg(HW_REG_IB_STS2, 6, 4)
	s_add_co_i32 s5, s5, s4
	s_cmp_eq_u32 s2, 0
	s_cselect_b32 s12, s3, s5
	s_wait_kmcnt 0x0
	s_cmp_ge_u32 s12, s11
	s_cbranch_scc1 .LBB143_9
; %bb.1:
	s_load_b96 s[8:10], s[0:1], 0x0
	s_bfe_u32 s3, ttmp6, 0x4000c
	s_and_b32 s4, ttmp6, 15
	s_add_co_i32 s3, s3, 1
	v_dual_mov_b32 v1, 0 :: v_dual_lshlrev_b32 v0, 1, v0
	s_mul_i32 s3, ttmp9, s3
	s_delay_alu instid0(SALU_CYCLE_1) | instskip(SKIP_4) | instid1(VALU_DEP_1)
	s_add_co_i32 s4, s4, s3
	s_cmp_eq_u32 s2, 0
	s_cselect_b32 s2, ttmp9, s4
	s_load_b128 s[4:7], s[0:1], 0x18
	v_lshl_or_b32 v0, s2, 9, v0
	v_or_b32_e32 v2, 1, v0
	s_wait_kmcnt 0x0
	s_cmp_neq_f32 s9, 1.0
	s_mov_b32 s2, s9
	s_mov_b32 s3, s10
	s_cselect_b32 s0, -1, 0
	s_cmp_neq_f32 s10, 0
	s_cselect_b32 s1, -1, 0
	s_delay_alu instid0(SALU_CYCLE_1)
	s_or_b32 s1, s0, s1
	s_bitcmp1_b32 s8, 0
	s_cselect_b32 s13, -1, 0
	s_add_co_i32 s0, s8, -1
	s_lshl_b64 s[6:7], s[6:7], 3
	v_cmp_eq_u32_e32 vcc_lo, s0, v0
	v_cmp_gt_u32_e64 s0, s8, v2
	s_mov_b32 s8, s10
	s_and_b32 s10, s13, vcc_lo
	s_branch .LBB143_4
.LBB143_2:                              ;   in Loop: Header=BB143_4 Depth=1
	s_wait_xcnt 0x0
	s_or_b32 exec_lo, exec_lo, s13
.LBB143_3:                              ;   in Loop: Header=BB143_4 Depth=1
	s_add_co_i32 s12, s12, 0x10000
	s_delay_alu instid0(SALU_CYCLE_1)
	s_cmp_lt_u32 s12, s11
	s_cbranch_scc0 .LBB143_9
.LBB143_4:                              ; =>This Inner Loop Header: Depth=1
	s_and_not1_b32 vcc_lo, exec_lo, s1
	s_cbranch_vccnz .LBB143_3
; %bb.5:                                ;   in Loop: Header=BB143_4 Depth=1
	s_load_b64 s[14:15], s[4:5], s12 offset:0x0 scale_offset
	s_wait_kmcnt 0x0
	s_add_nc_u64 s[14:15], s[14:15], s[6:7]
	s_delay_alu instid0(SALU_CYCLE_1)
	v_lshl_add_u64 v[2:3], v[0:1], 3, s[14:15]
	s_and_saveexec_b32 s13, s0
	s_cbranch_execz .LBB143_7
; %bb.6:                                ;   in Loop: Header=BB143_4 Depth=1
	flat_load_b128 v[4:7], v[2:3]
	v_mov_b64_e32 v[8:9], s[8:9]
	v_mov_b64_e32 v[14:15], s[2:3]
	s_wait_loadcnt_dscnt 0x0
	v_mov_b32_e32 v10, v7
	s_delay_alu instid0(VALU_DEP_3) | instskip(NEXT) | instid1(VALU_DEP_2)
	v_pk_mul_f32 v[12:13], v[8:9], v[4:5] op_sel:[0,1]
	v_pk_mul_f32 v[8:9], v[8:9], v[10:11] op_sel_hi:[1,0]
	s_delay_alu instid0(VALU_DEP_2) | instskip(SKIP_1) | instid1(VALU_DEP_3)
	v_pk_fma_f32 v[10:11], v[14:15], v[4:5], v[12:13] op_sel_hi:[1,0,1]
	v_pk_fma_f32 v[4:5], v[14:15], v[4:5], v[12:13] neg_lo:[0,0,1] neg_hi:[0,0,1]
	v_pk_fma_f32 v[16:17], v[14:15], v[6:7], v[8:9] op_sel_hi:[1,0,1]
	v_pk_fma_f32 v[6:7], v[14:15], v[6:7], v[8:9] neg_lo:[0,0,1] neg_hi:[0,0,1]
	s_delay_alu instid0(VALU_DEP_2)
	v_dual_mov_b32 v5, v11 :: v_dual_mov_b32 v7, v17
	flat_store_b128 v[2:3], v[4:7]
.LBB143_7:                              ;   in Loop: Header=BB143_4 Depth=1
	s_wait_xcnt 0x0
	s_or_b32 exec_lo, exec_lo, s13
	s_and_saveexec_b32 s13, s10
	s_cbranch_execz .LBB143_2
; %bb.8:                                ;   in Loop: Header=BB143_4 Depth=1
	flat_load_b64 v[4:5], v[2:3]
	v_mov_b64_e32 v[6:7], s[8:9]
	v_mov_b64_e32 v[8:9], s[2:3]
	s_wait_loadcnt_dscnt 0x0
	s_delay_alu instid0(VALU_DEP_2) | instskip(NEXT) | instid1(VALU_DEP_1)
	v_pk_mul_f32 v[6:7], v[6:7], v[4:5] op_sel:[0,1]
	v_pk_fma_f32 v[10:11], v[8:9], v[4:5], v[6:7] op_sel_hi:[1,0,1]
	v_pk_fma_f32 v[4:5], v[8:9], v[4:5], v[6:7] neg_lo:[0,0,1] neg_hi:[0,0,1]
	s_delay_alu instid0(VALU_DEP_2)
	v_mov_b32_e32 v5, v11
	flat_store_b64 v[2:3], v[4:5]
	s_branch .LBB143_2
.LBB143_9:
	s_endpgm
	.section	.rodata,"a",@progbits
	.p2align	6, 0x0
	.amdhsa_kernel _ZL22rocblas_sscal_2_kernelILi256E19rocblas_complex_numIfES1_S1_PKPS1_EviT2_lT3_lli
		.amdhsa_group_segment_fixed_size 0
		.amdhsa_private_segment_fixed_size 0
		.amdhsa_kernarg_size 52
		.amdhsa_user_sgpr_count 2
		.amdhsa_user_sgpr_dispatch_ptr 0
		.amdhsa_user_sgpr_queue_ptr 0
		.amdhsa_user_sgpr_kernarg_segment_ptr 1
		.amdhsa_user_sgpr_dispatch_id 0
		.amdhsa_user_sgpr_kernarg_preload_length 0
		.amdhsa_user_sgpr_kernarg_preload_offset 0
		.amdhsa_user_sgpr_private_segment_size 0
		.amdhsa_wavefront_size32 1
		.amdhsa_uses_dynamic_stack 0
		.amdhsa_enable_private_segment 0
		.amdhsa_system_sgpr_workgroup_id_x 1
		.amdhsa_system_sgpr_workgroup_id_y 0
		.amdhsa_system_sgpr_workgroup_id_z 1
		.amdhsa_system_sgpr_workgroup_info 0
		.amdhsa_system_vgpr_workitem_id 0
		.amdhsa_next_free_vgpr 18
		.amdhsa_next_free_sgpr 16
		.amdhsa_named_barrier_count 0
		.amdhsa_reserve_vcc 1
		.amdhsa_float_round_mode_32 0
		.amdhsa_float_round_mode_16_64 0
		.amdhsa_float_denorm_mode_32 3
		.amdhsa_float_denorm_mode_16_64 3
		.amdhsa_fp16_overflow 0
		.amdhsa_memory_ordered 1
		.amdhsa_forward_progress 1
		.amdhsa_inst_pref_size 4
		.amdhsa_round_robin_scheduling 0
		.amdhsa_exception_fp_ieee_invalid_op 0
		.amdhsa_exception_fp_denorm_src 0
		.amdhsa_exception_fp_ieee_div_zero 0
		.amdhsa_exception_fp_ieee_overflow 0
		.amdhsa_exception_fp_ieee_underflow 0
		.amdhsa_exception_fp_ieee_inexact 0
		.amdhsa_exception_int_div_zero 0
	.end_amdhsa_kernel
	.section	.text._ZL22rocblas_sscal_2_kernelILi256E19rocblas_complex_numIfES1_S1_PKPS1_EviT2_lT3_lli,"axG",@progbits,_ZL22rocblas_sscal_2_kernelILi256E19rocblas_complex_numIfES1_S1_PKPS1_EviT2_lT3_lli,comdat
.Lfunc_end143:
	.size	_ZL22rocblas_sscal_2_kernelILi256E19rocblas_complex_numIfES1_S1_PKPS1_EviT2_lT3_lli, .Lfunc_end143-_ZL22rocblas_sscal_2_kernelILi256E19rocblas_complex_numIfES1_S1_PKPS1_EviT2_lT3_lli
                                        ; -- End function
	.set _ZL22rocblas_sscal_2_kernelILi256E19rocblas_complex_numIfES1_S1_PKPS1_EviT2_lT3_lli.num_vgpr, 18
	.set _ZL22rocblas_sscal_2_kernelILi256E19rocblas_complex_numIfES1_S1_PKPS1_EviT2_lT3_lli.num_agpr, 0
	.set _ZL22rocblas_sscal_2_kernelILi256E19rocblas_complex_numIfES1_S1_PKPS1_EviT2_lT3_lli.numbered_sgpr, 16
	.set _ZL22rocblas_sscal_2_kernelILi256E19rocblas_complex_numIfES1_S1_PKPS1_EviT2_lT3_lli.num_named_barrier, 0
	.set _ZL22rocblas_sscal_2_kernelILi256E19rocblas_complex_numIfES1_S1_PKPS1_EviT2_lT3_lli.private_seg_size, 0
	.set _ZL22rocblas_sscal_2_kernelILi256E19rocblas_complex_numIfES1_S1_PKPS1_EviT2_lT3_lli.uses_vcc, 1
	.set _ZL22rocblas_sscal_2_kernelILi256E19rocblas_complex_numIfES1_S1_PKPS1_EviT2_lT3_lli.uses_flat_scratch, 0
	.set _ZL22rocblas_sscal_2_kernelILi256E19rocblas_complex_numIfES1_S1_PKPS1_EviT2_lT3_lli.has_dyn_sized_stack, 0
	.set _ZL22rocblas_sscal_2_kernelILi256E19rocblas_complex_numIfES1_S1_PKPS1_EviT2_lT3_lli.has_recursion, 0
	.set _ZL22rocblas_sscal_2_kernelILi256E19rocblas_complex_numIfES1_S1_PKPS1_EviT2_lT3_lli.has_indirect_call, 0
	.section	.AMDGPU.csdata,"",@progbits
; Kernel info:
; codeLenInByte = 492
; TotalNumSgprs: 18
; NumVgprs: 18
; ScratchSize: 0
; MemoryBound: 0
; FloatMode: 240
; IeeeMode: 1
; LDSByteSize: 0 bytes/workgroup (compile time only)
; SGPRBlocks: 0
; VGPRBlocks: 1
; NumSGPRsForWavesPerEU: 18
; NumVGPRsForWavesPerEU: 18
; NamedBarCnt: 0
; Occupancy: 16
; WaveLimiterHint : 1
; COMPUTE_PGM_RSRC2:SCRATCH_EN: 0
; COMPUTE_PGM_RSRC2:USER_SGPR: 2
; COMPUTE_PGM_RSRC2:TRAP_HANDLER: 0
; COMPUTE_PGM_RSRC2:TGID_X_EN: 1
; COMPUTE_PGM_RSRC2:TGID_Y_EN: 0
; COMPUTE_PGM_RSRC2:TGID_Z_EN: 1
; COMPUTE_PGM_RSRC2:TIDIG_COMP_CNT: 0
	.section	.text._ZL19rocblas_scal_kernelIiLi256E19rocblas_complex_numIfES1_PKS1_PKPS1_EviT3_lT4_lT_li,"axG",@progbits,_ZL19rocblas_scal_kernelIiLi256E19rocblas_complex_numIfES1_PKS1_PKPS1_EviT3_lT4_lT_li,comdat
	.globl	_ZL19rocblas_scal_kernelIiLi256E19rocblas_complex_numIfES1_PKS1_PKPS1_EviT3_lT4_lT_li ; -- Begin function _ZL19rocblas_scal_kernelIiLi256E19rocblas_complex_numIfES1_PKS1_PKPS1_EviT3_lT4_lT_li
	.p2align	8
	.type	_ZL19rocblas_scal_kernelIiLi256E19rocblas_complex_numIfES1_PKS1_PKPS1_EviT3_lT4_lT_li,@function
_ZL19rocblas_scal_kernelIiLi256E19rocblas_complex_numIfES1_PKS1_PKPS1_EviT3_lT4_lT_li: ; @_ZL19rocblas_scal_kernelIiLi256E19rocblas_complex_numIfES1_PKS1_PKPS1_EviT3_lT4_lT_li
; %bb.0:
	s_load_b32 s12, s[0:1], 0x38
	s_bfe_u32 s2, ttmp6, 0x40014
	s_lshr_b32 s3, ttmp7, 16
	s_add_co_i32 s2, s2, 1
	s_bfe_u32 s5, ttmp6, 0x40008
	s_mul_i32 s2, s3, s2
	s_getreg_b32 s4, hwreg(HW_REG_IB_STS2, 6, 4)
	s_add_co_i32 s5, s5, s2
	s_cmp_eq_u32 s4, 0
	s_cselect_b32 s2, s3, s5
	s_mov_b32 s3, 0
	s_wait_kmcnt 0x0
	s_cmp_ge_u32 s2, s12
	s_cbranch_scc1 .LBB144_5
; %bb.1:
	s_load_b32 s6, s[0:1], 0x28
	s_bfe_u32 s5, ttmp6, 0x4000c
	s_and_b32 s7, ttmp6, 15
	s_add_co_i32 s5, s5, 1
	v_mov_b32_e32 v1, 0
	s_mul_i32 s5, ttmp9, s5
	s_delay_alu instid0(SALU_CYCLE_1) | instskip(SKIP_4) | instid1(SALU_CYCLE_1)
	s_add_co_i32 s5, s7, s5
	s_wait_kmcnt 0x0
	s_ashr_i32 s7, s6, 31
	s_cmp_eq_u32 s4, 0
	s_cselect_b32 s4, ttmp9, s5
	v_lshl_or_b32 v0, s4, 8, v0
	s_delay_alu instid0(VALU_DEP_1)
	v_mul_u64_e32 v[2:3], s[6:7], v[0:1]
	s_clause 0x1
	s_load_b32 s13, s[0:1], 0x0
	s_load_b256 s[4:11], s[0:1], 0x8
	s_wait_kmcnt 0x0
	v_cmp_gt_u32_e32 vcc_lo, s13, v0
	s_lshl_b64 s[10:11], s[10:11], 3
	s_branch .LBB144_3
.LBB144_2:                              ;   in Loop: Header=BB144_3 Depth=1
	s_wait_xcnt 0x0
	s_or_b32 exec_lo, exec_lo, s0
	s_add_co_i32 s2, s2, 0x10000
	s_delay_alu instid0(SALU_CYCLE_1)
	s_cmp_lt_u32 s2, s12
	s_cbranch_scc0 .LBB144_5
.LBB144_3:                              ; =>This Inner Loop Header: Depth=1
	s_mul_u64 s[0:1], s[6:7], s[2:3]
	s_delay_alu instid0(SALU_CYCLE_1) | instskip(NEXT) | instid1(SALU_CYCLE_1)
	s_lshl_b64 s[0:1], s[0:1], 3
	s_add_nc_u64 s[0:1], s[4:5], s[0:1]
	global_load_b64 v[4:5], v1, s[0:1]
	s_wait_loadcnt 0x0
	s_wait_xcnt 0x0
	v_cmp_neq_f32_e64 s0, 1.0, v4
	v_cmp_neq_f32_e64 s1, 0, v5
	s_or_b32 s0, s0, s1
	s_delay_alu instid0(SALU_CYCLE_1) | instskip(NEXT) | instid1(SALU_CYCLE_1)
	s_and_b32 s1, vcc_lo, s0
	s_and_saveexec_b32 s0, s1
	s_cbranch_execz .LBB144_2
; %bb.4:                                ;   in Loop: Header=BB144_3 Depth=1
	s_lshl_b64 s[14:15], s[2:3], 3
	s_delay_alu instid0(SALU_CYCLE_1) | instskip(SKIP_4) | instid1(SALU_CYCLE_1)
	s_add_nc_u64 s[14:15], s[8:9], s[14:15]
	s_load_b64 s[14:15], s[14:15], 0x0
	s_wait_kmcnt 0x0
	s_wait_xcnt 0x0
	s_add_nc_u64 s[14:15], s[14:15], s[10:11]
	v_lshl_add_u64 v[6:7], v[2:3], 3, s[14:15]
	flat_load_b64 v[8:9], v[6:7]
	s_wait_loadcnt_dscnt 0x0
	v_pk_mul_f32 v[10:11], v[4:5], v[8:9] op_sel:[1,1] op_sel_hi:[0,1]
	s_delay_alu instid0(VALU_DEP_1) | instskip(SKIP_1) | instid1(VALU_DEP_2)
	v_pk_fma_f32 v[12:13], v[4:5], v[8:9], v[10:11] op_sel_hi:[1,0,1]
	v_pk_fma_f32 v[4:5], v[4:5], v[8:9], v[10:11] neg_lo:[0,0,1] neg_hi:[0,0,1]
	v_mov_b32_e32 v5, v13
	flat_store_b64 v[6:7], v[4:5]
	s_branch .LBB144_2
.LBB144_5:
	s_endpgm
	.section	.rodata,"a",@progbits
	.p2align	6, 0x0
	.amdhsa_kernel _ZL19rocblas_scal_kernelIiLi256E19rocblas_complex_numIfES1_PKS1_PKPS1_EviT3_lT4_lT_li
		.amdhsa_group_segment_fixed_size 0
		.amdhsa_private_segment_fixed_size 0
		.amdhsa_kernarg_size 60
		.amdhsa_user_sgpr_count 2
		.amdhsa_user_sgpr_dispatch_ptr 0
		.amdhsa_user_sgpr_queue_ptr 0
		.amdhsa_user_sgpr_kernarg_segment_ptr 1
		.amdhsa_user_sgpr_dispatch_id 0
		.amdhsa_user_sgpr_kernarg_preload_length 0
		.amdhsa_user_sgpr_kernarg_preload_offset 0
		.amdhsa_user_sgpr_private_segment_size 0
		.amdhsa_wavefront_size32 1
		.amdhsa_uses_dynamic_stack 0
		.amdhsa_enable_private_segment 0
		.amdhsa_system_sgpr_workgroup_id_x 1
		.amdhsa_system_sgpr_workgroup_id_y 0
		.amdhsa_system_sgpr_workgroup_id_z 1
		.amdhsa_system_sgpr_workgroup_info 0
		.amdhsa_system_vgpr_workitem_id 0
		.amdhsa_next_free_vgpr 14
		.amdhsa_next_free_sgpr 16
		.amdhsa_named_barrier_count 0
		.amdhsa_reserve_vcc 1
		.amdhsa_float_round_mode_32 0
		.amdhsa_float_round_mode_16_64 0
		.amdhsa_float_denorm_mode_32 3
		.amdhsa_float_denorm_mode_16_64 3
		.amdhsa_fp16_overflow 0
		.amdhsa_memory_ordered 1
		.amdhsa_forward_progress 1
		.amdhsa_inst_pref_size 3
		.amdhsa_round_robin_scheduling 0
		.amdhsa_exception_fp_ieee_invalid_op 0
		.amdhsa_exception_fp_denorm_src 0
		.amdhsa_exception_fp_ieee_div_zero 0
		.amdhsa_exception_fp_ieee_overflow 0
		.amdhsa_exception_fp_ieee_underflow 0
		.amdhsa_exception_fp_ieee_inexact 0
		.amdhsa_exception_int_div_zero 0
	.end_amdhsa_kernel
	.section	.text._ZL19rocblas_scal_kernelIiLi256E19rocblas_complex_numIfES1_PKS1_PKPS1_EviT3_lT4_lT_li,"axG",@progbits,_ZL19rocblas_scal_kernelIiLi256E19rocblas_complex_numIfES1_PKS1_PKPS1_EviT3_lT4_lT_li,comdat
.Lfunc_end144:
	.size	_ZL19rocblas_scal_kernelIiLi256E19rocblas_complex_numIfES1_PKS1_PKPS1_EviT3_lT4_lT_li, .Lfunc_end144-_ZL19rocblas_scal_kernelIiLi256E19rocblas_complex_numIfES1_PKS1_PKPS1_EviT3_lT4_lT_li
                                        ; -- End function
	.set _ZL19rocblas_scal_kernelIiLi256E19rocblas_complex_numIfES1_PKS1_PKPS1_EviT3_lT4_lT_li.num_vgpr, 14
	.set _ZL19rocblas_scal_kernelIiLi256E19rocblas_complex_numIfES1_PKS1_PKPS1_EviT3_lT4_lT_li.num_agpr, 0
	.set _ZL19rocblas_scal_kernelIiLi256E19rocblas_complex_numIfES1_PKS1_PKPS1_EviT3_lT4_lT_li.numbered_sgpr, 16
	.set _ZL19rocblas_scal_kernelIiLi256E19rocblas_complex_numIfES1_PKS1_PKPS1_EviT3_lT4_lT_li.num_named_barrier, 0
	.set _ZL19rocblas_scal_kernelIiLi256E19rocblas_complex_numIfES1_PKS1_PKPS1_EviT3_lT4_lT_li.private_seg_size, 0
	.set _ZL19rocblas_scal_kernelIiLi256E19rocblas_complex_numIfES1_PKS1_PKPS1_EviT3_lT4_lT_li.uses_vcc, 1
	.set _ZL19rocblas_scal_kernelIiLi256E19rocblas_complex_numIfES1_PKS1_PKPS1_EviT3_lT4_lT_li.uses_flat_scratch, 0
	.set _ZL19rocblas_scal_kernelIiLi256E19rocblas_complex_numIfES1_PKS1_PKPS1_EviT3_lT4_lT_li.has_dyn_sized_stack, 0
	.set _ZL19rocblas_scal_kernelIiLi256E19rocblas_complex_numIfES1_PKS1_PKPS1_EviT3_lT4_lT_li.has_recursion, 0
	.set _ZL19rocblas_scal_kernelIiLi256E19rocblas_complex_numIfES1_PKS1_PKPS1_EviT3_lT4_lT_li.has_indirect_call, 0
	.section	.AMDGPU.csdata,"",@progbits
; Kernel info:
; codeLenInByte = 384
; TotalNumSgprs: 18
; NumVgprs: 14
; ScratchSize: 0
; MemoryBound: 0
; FloatMode: 240
; IeeeMode: 1
; LDSByteSize: 0 bytes/workgroup (compile time only)
; SGPRBlocks: 0
; VGPRBlocks: 0
; NumSGPRsForWavesPerEU: 18
; NumVGPRsForWavesPerEU: 14
; NamedBarCnt: 0
; Occupancy: 16
; WaveLimiterHint : 1
; COMPUTE_PGM_RSRC2:SCRATCH_EN: 0
; COMPUTE_PGM_RSRC2:USER_SGPR: 2
; COMPUTE_PGM_RSRC2:TRAP_HANDLER: 0
; COMPUTE_PGM_RSRC2:TGID_X_EN: 1
; COMPUTE_PGM_RSRC2:TGID_Y_EN: 0
; COMPUTE_PGM_RSRC2:TGID_Z_EN: 1
; COMPUTE_PGM_RSRC2:TIDIG_COMP_CNT: 0
	.section	.text._ZL19rocblas_scal_kernelIiLi256E19rocblas_complex_numIfES1_S1_PKPS1_EviT3_lT4_lT_li,"axG",@progbits,_ZL19rocblas_scal_kernelIiLi256E19rocblas_complex_numIfES1_S1_PKPS1_EviT3_lT4_lT_li,comdat
	.globl	_ZL19rocblas_scal_kernelIiLi256E19rocblas_complex_numIfES1_S1_PKPS1_EviT3_lT4_lT_li ; -- Begin function _ZL19rocblas_scal_kernelIiLi256E19rocblas_complex_numIfES1_S1_PKPS1_EviT3_lT4_lT_li
	.p2align	8
	.type	_ZL19rocblas_scal_kernelIiLi256E19rocblas_complex_numIfES1_S1_PKPS1_EviT3_lT4_lT_li,@function
_ZL19rocblas_scal_kernelIiLi256E19rocblas_complex_numIfES1_S1_PKPS1_EviT3_lT4_lT_li: ; @_ZL19rocblas_scal_kernelIiLi256E19rocblas_complex_numIfES1_S1_PKPS1_EviT3_lT4_lT_li
; %bb.0:
	s_load_b32 s11, s[0:1], 0x38
	s_bfe_u32 s2, ttmp6, 0x40014
	s_lshr_b32 s3, ttmp7, 16
	s_add_co_i32 s2, s2, 1
	s_bfe_u32 s5, ttmp6, 0x40008
	s_mul_i32 s4, s3, s2
	s_getreg_b32 s2, hwreg(HW_REG_IB_STS2, 6, 4)
	s_add_co_i32 s5, s5, s4
	s_cmp_eq_u32 s2, 0
	s_cselect_b32 s12, s3, s5
	s_wait_kmcnt 0x0
	s_cmp_ge_u32 s12, s11
	s_cbranch_scc1 .LBB145_5
; %bb.1:
	s_load_b32 s4, s[0:1], 0x28
	s_bfe_u32 s3, ttmp6, 0x4000c
	s_and_b32 s5, ttmp6, 15
	s_add_co_i32 s3, s3, 1
	v_mov_b32_e32 v3, 0
	s_mul_i32 s3, ttmp9, s3
	s_load_b96 s[8:10], s[0:1], 0x0
	s_add_co_i32 s3, s5, s3
	s_wait_kmcnt 0x0
	s_ashr_i32 s5, s4, 31
	s_cmp_eq_u32 s2, 0
	s_cselect_b32 s2, ttmp9, s3
	s_delay_alu instid0(SALU_CYCLE_1) | instskip(NEXT) | instid1(VALU_DEP_1)
	v_lshl_or_b32 v2, s2, 8, v0
	v_mul_u64_e32 v[0:1], s[4:5], v[2:3]
	s_load_b128 s[4:7], s[0:1], 0x18
	s_cmp_neq_f32 s9, 1.0
	v_cmp_gt_u32_e32 vcc_lo, s8, v2
	s_wait_xcnt 0x0
	s_mov_b32 s0, s9
	s_mov_b32 s8, s10
	s_cselect_b32 s1, -1, 0
	s_cmp_neq_f32 s10, 0
	s_cselect_b32 s2, -1, 0
	s_delay_alu instid0(SALU_CYCLE_1)
	s_or_b32 s2, s1, s2
	s_mov_b32 s1, s10
	s_and_b32 s13, vcc_lo, s2
	s_wait_kmcnt 0x0
	s_lshl_b64 s[2:3], s[6:7], 3
	s_branch .LBB145_3
.LBB145_2:                              ;   in Loop: Header=BB145_3 Depth=1
	s_wait_xcnt 0x0
	s_or_b32 exec_lo, exec_lo, s6
	s_add_co_i32 s12, s12, 0x10000
	s_delay_alu instid0(SALU_CYCLE_1)
	s_cmp_lt_u32 s12, s11
	s_cbranch_scc0 .LBB145_5
.LBB145_3:                              ; =>This Inner Loop Header: Depth=1
	s_and_saveexec_b32 s6, s13
	s_cbranch_execz .LBB145_2
; %bb.4:                                ;   in Loop: Header=BB145_3 Depth=1
	s_load_b64 s[14:15], s[4:5], s12 offset:0x0 scale_offset
	v_mov_b64_e32 v[6:7], s[8:9]
	v_mov_b64_e32 v[8:9], s[0:1]
	s_wait_kmcnt 0x0
	s_add_nc_u64 s[14:15], s[14:15], s[2:3]
	s_delay_alu instid0(VALU_DEP_4) | instid1(SALU_CYCLE_1)
	v_lshl_add_u64 v[2:3], v[0:1], 3, s[14:15]
	flat_load_b64 v[4:5], v[2:3]
	s_wait_loadcnt_dscnt 0x0
	v_pk_mul_f32 v[6:7], v[6:7], v[4:5] op_sel:[0,1]
	s_delay_alu instid0(VALU_DEP_1) | instskip(SKIP_1) | instid1(VALU_DEP_2)
	v_pk_fma_f32 v[10:11], v[8:9], v[4:5], v[6:7] op_sel_hi:[1,0,1]
	v_pk_fma_f32 v[4:5], v[8:9], v[4:5], v[6:7] neg_lo:[0,0,1] neg_hi:[0,0,1]
	v_mov_b32_e32 v5, v11
	flat_store_b64 v[2:3], v[4:5]
	s_branch .LBB145_2
.LBB145_5:
	s_endpgm
	.section	.rodata,"a",@progbits
	.p2align	6, 0x0
	.amdhsa_kernel _ZL19rocblas_scal_kernelIiLi256E19rocblas_complex_numIfES1_S1_PKPS1_EviT3_lT4_lT_li
		.amdhsa_group_segment_fixed_size 0
		.amdhsa_private_segment_fixed_size 0
		.amdhsa_kernarg_size 60
		.amdhsa_user_sgpr_count 2
		.amdhsa_user_sgpr_dispatch_ptr 0
		.amdhsa_user_sgpr_queue_ptr 0
		.amdhsa_user_sgpr_kernarg_segment_ptr 1
		.amdhsa_user_sgpr_dispatch_id 0
		.amdhsa_user_sgpr_kernarg_preload_length 0
		.amdhsa_user_sgpr_kernarg_preload_offset 0
		.amdhsa_user_sgpr_private_segment_size 0
		.amdhsa_wavefront_size32 1
		.amdhsa_uses_dynamic_stack 0
		.amdhsa_enable_private_segment 0
		.amdhsa_system_sgpr_workgroup_id_x 1
		.amdhsa_system_sgpr_workgroup_id_y 0
		.amdhsa_system_sgpr_workgroup_id_z 1
		.amdhsa_system_sgpr_workgroup_info 0
		.amdhsa_system_vgpr_workitem_id 0
		.amdhsa_next_free_vgpr 12
		.amdhsa_next_free_sgpr 16
		.amdhsa_named_barrier_count 0
		.amdhsa_reserve_vcc 1
		.amdhsa_float_round_mode_32 0
		.amdhsa_float_round_mode_16_64 0
		.amdhsa_float_denorm_mode_32 3
		.amdhsa_float_denorm_mode_16_64 3
		.amdhsa_fp16_overflow 0
		.amdhsa_memory_ordered 1
		.amdhsa_forward_progress 1
		.amdhsa_inst_pref_size 3
		.amdhsa_round_robin_scheduling 0
		.amdhsa_exception_fp_ieee_invalid_op 0
		.amdhsa_exception_fp_denorm_src 0
		.amdhsa_exception_fp_ieee_div_zero 0
		.amdhsa_exception_fp_ieee_overflow 0
		.amdhsa_exception_fp_ieee_underflow 0
		.amdhsa_exception_fp_ieee_inexact 0
		.amdhsa_exception_int_div_zero 0
	.end_amdhsa_kernel
	.section	.text._ZL19rocblas_scal_kernelIiLi256E19rocblas_complex_numIfES1_S1_PKPS1_EviT3_lT4_lT_li,"axG",@progbits,_ZL19rocblas_scal_kernelIiLi256E19rocblas_complex_numIfES1_S1_PKPS1_EviT3_lT4_lT_li,comdat
.Lfunc_end145:
	.size	_ZL19rocblas_scal_kernelIiLi256E19rocblas_complex_numIfES1_S1_PKPS1_EviT3_lT4_lT_li, .Lfunc_end145-_ZL19rocblas_scal_kernelIiLi256E19rocblas_complex_numIfES1_S1_PKPS1_EviT3_lT4_lT_li
                                        ; -- End function
	.set _ZL19rocblas_scal_kernelIiLi256E19rocblas_complex_numIfES1_S1_PKPS1_EviT3_lT4_lT_li.num_vgpr, 12
	.set _ZL19rocblas_scal_kernelIiLi256E19rocblas_complex_numIfES1_S1_PKPS1_EviT3_lT4_lT_li.num_agpr, 0
	.set _ZL19rocblas_scal_kernelIiLi256E19rocblas_complex_numIfES1_S1_PKPS1_EviT3_lT4_lT_li.numbered_sgpr, 16
	.set _ZL19rocblas_scal_kernelIiLi256E19rocblas_complex_numIfES1_S1_PKPS1_EviT3_lT4_lT_li.num_named_barrier, 0
	.set _ZL19rocblas_scal_kernelIiLi256E19rocblas_complex_numIfES1_S1_PKPS1_EviT3_lT4_lT_li.private_seg_size, 0
	.set _ZL19rocblas_scal_kernelIiLi256E19rocblas_complex_numIfES1_S1_PKPS1_EviT3_lT4_lT_li.uses_vcc, 1
	.set _ZL19rocblas_scal_kernelIiLi256E19rocblas_complex_numIfES1_S1_PKPS1_EviT3_lT4_lT_li.uses_flat_scratch, 0
	.set _ZL19rocblas_scal_kernelIiLi256E19rocblas_complex_numIfES1_S1_PKPS1_EviT3_lT4_lT_li.has_dyn_sized_stack, 0
	.set _ZL19rocblas_scal_kernelIiLi256E19rocblas_complex_numIfES1_S1_PKPS1_EviT3_lT4_lT_li.has_recursion, 0
	.set _ZL19rocblas_scal_kernelIiLi256E19rocblas_complex_numIfES1_S1_PKPS1_EviT3_lT4_lT_li.has_indirect_call, 0
	.section	.AMDGPU.csdata,"",@progbits
; Kernel info:
; codeLenInByte = 348
; TotalNumSgprs: 18
; NumVgprs: 12
; ScratchSize: 0
; MemoryBound: 0
; FloatMode: 240
; IeeeMode: 1
; LDSByteSize: 0 bytes/workgroup (compile time only)
; SGPRBlocks: 0
; VGPRBlocks: 0
; NumSGPRsForWavesPerEU: 18
; NumVGPRsForWavesPerEU: 12
; NamedBarCnt: 0
; Occupancy: 16
; WaveLimiterHint : 1
; COMPUTE_PGM_RSRC2:SCRATCH_EN: 0
; COMPUTE_PGM_RSRC2:USER_SGPR: 2
; COMPUTE_PGM_RSRC2:TRAP_HANDLER: 0
; COMPUTE_PGM_RSRC2:TGID_X_EN: 1
; COMPUTE_PGM_RSRC2:TGID_Y_EN: 0
; COMPUTE_PGM_RSRC2:TGID_Z_EN: 1
; COMPUTE_PGM_RSRC2:TIDIG_COMP_CNT: 0
	.section	.text._ZL19rocblas_scal_kernelIlLi256E19rocblas_complex_numIfES1_PKS1_PKPS1_EviT3_lT4_lT_li,"axG",@progbits,_ZL19rocblas_scal_kernelIlLi256E19rocblas_complex_numIfES1_PKS1_PKPS1_EviT3_lT4_lT_li,comdat
	.globl	_ZL19rocblas_scal_kernelIlLi256E19rocblas_complex_numIfES1_PKS1_PKPS1_EviT3_lT4_lT_li ; -- Begin function _ZL19rocblas_scal_kernelIlLi256E19rocblas_complex_numIfES1_PKS1_PKPS1_EviT3_lT4_lT_li
	.p2align	8
	.type	_ZL19rocblas_scal_kernelIlLi256E19rocblas_complex_numIfES1_PKS1_PKPS1_EviT3_lT4_lT_li,@function
_ZL19rocblas_scal_kernelIlLi256E19rocblas_complex_numIfES1_PKS1_PKPS1_EviT3_lT4_lT_li: ; @_ZL19rocblas_scal_kernelIlLi256E19rocblas_complex_numIfES1_PKS1_PKPS1_EviT3_lT4_lT_li
; %bb.0:
	s_load_b32 s12, s[0:1], 0x38
	s_bfe_u32 s2, ttmp6, 0x40014
	s_lshr_b32 s3, ttmp7, 16
	s_add_co_i32 s2, s2, 1
	s_bfe_u32 s5, ttmp6, 0x40008
	s_mul_i32 s2, s3, s2
	s_getreg_b32 s4, hwreg(HW_REG_IB_STS2, 6, 4)
	s_add_co_i32 s5, s5, s2
	s_cmp_eq_u32 s4, 0
	s_cselect_b32 s2, s3, s5
	s_mov_b32 s3, 0
	s_wait_kmcnt 0x0
	s_cmp_ge_u32 s2, s12
	s_cbranch_scc1 .LBB146_5
; %bb.1:
	s_load_b64 s[6:7], s[0:1], 0x28
	s_bfe_u32 s5, ttmp6, 0x4000c
	s_and_b32 s8, ttmp6, 15
	s_add_co_i32 s5, s5, 1
	v_mov_b32_e32 v1, 0
	s_mul_i32 s5, ttmp9, s5
	s_delay_alu instid0(SALU_CYCLE_1) | instskip(SKIP_2) | instid1(SALU_CYCLE_1)
	s_add_co_i32 s8, s8, s5
	s_cmp_eq_u32 s4, 0
	s_cselect_b32 s4, ttmp9, s8
	v_lshl_or_b32 v0, s4, 8, v0
	s_wait_kmcnt 0x0
	s_delay_alu instid0(VALU_DEP_1)
	v_mul_u64_e32 v[2:3], s[6:7], v[0:1]
	s_clause 0x1
	s_load_b32 s13, s[0:1], 0x0
	s_load_b256 s[4:11], s[0:1], 0x8
	s_wait_kmcnt 0x0
	v_cmp_gt_u32_e32 vcc_lo, s13, v0
	s_lshl_b64 s[10:11], s[10:11], 3
	s_branch .LBB146_3
.LBB146_2:                              ;   in Loop: Header=BB146_3 Depth=1
	s_wait_xcnt 0x0
	s_or_b32 exec_lo, exec_lo, s0
	s_add_co_i32 s2, s2, 0x10000
	s_delay_alu instid0(SALU_CYCLE_1)
	s_cmp_lt_u32 s2, s12
	s_cbranch_scc0 .LBB146_5
.LBB146_3:                              ; =>This Inner Loop Header: Depth=1
	s_mul_u64 s[0:1], s[6:7], s[2:3]
	s_delay_alu instid0(SALU_CYCLE_1) | instskip(NEXT) | instid1(SALU_CYCLE_1)
	s_lshl_b64 s[0:1], s[0:1], 3
	s_add_nc_u64 s[0:1], s[4:5], s[0:1]
	global_load_b64 v[4:5], v1, s[0:1]
	s_wait_loadcnt 0x0
	s_wait_xcnt 0x0
	v_cmp_neq_f32_e64 s0, 1.0, v4
	v_cmp_neq_f32_e64 s1, 0, v5
	s_or_b32 s0, s0, s1
	s_delay_alu instid0(SALU_CYCLE_1) | instskip(NEXT) | instid1(SALU_CYCLE_1)
	s_and_b32 s1, vcc_lo, s0
	s_and_saveexec_b32 s0, s1
	s_cbranch_execz .LBB146_2
; %bb.4:                                ;   in Loop: Header=BB146_3 Depth=1
	s_lshl_b64 s[14:15], s[2:3], 3
	s_delay_alu instid0(SALU_CYCLE_1) | instskip(SKIP_4) | instid1(SALU_CYCLE_1)
	s_add_nc_u64 s[14:15], s[8:9], s[14:15]
	s_load_b64 s[14:15], s[14:15], 0x0
	s_wait_kmcnt 0x0
	s_wait_xcnt 0x0
	s_add_nc_u64 s[14:15], s[14:15], s[10:11]
	v_lshl_add_u64 v[6:7], v[2:3], 3, s[14:15]
	flat_load_b64 v[8:9], v[6:7]
	s_wait_loadcnt_dscnt 0x0
	v_pk_mul_f32 v[10:11], v[4:5], v[8:9] op_sel:[1,1] op_sel_hi:[0,1]
	s_delay_alu instid0(VALU_DEP_1) | instskip(SKIP_1) | instid1(VALU_DEP_2)
	v_pk_fma_f32 v[12:13], v[4:5], v[8:9], v[10:11] op_sel_hi:[1,0,1]
	v_pk_fma_f32 v[4:5], v[4:5], v[8:9], v[10:11] neg_lo:[0,0,1] neg_hi:[0,0,1]
	v_mov_b32_e32 v5, v13
	flat_store_b64 v[6:7], v[4:5]
	s_branch .LBB146_2
.LBB146_5:
	s_endpgm
	.section	.rodata,"a",@progbits
	.p2align	6, 0x0
	.amdhsa_kernel _ZL19rocblas_scal_kernelIlLi256E19rocblas_complex_numIfES1_PKS1_PKPS1_EviT3_lT4_lT_li
		.amdhsa_group_segment_fixed_size 0
		.amdhsa_private_segment_fixed_size 0
		.amdhsa_kernarg_size 60
		.amdhsa_user_sgpr_count 2
		.amdhsa_user_sgpr_dispatch_ptr 0
		.amdhsa_user_sgpr_queue_ptr 0
		.amdhsa_user_sgpr_kernarg_segment_ptr 1
		.amdhsa_user_sgpr_dispatch_id 0
		.amdhsa_user_sgpr_kernarg_preload_length 0
		.amdhsa_user_sgpr_kernarg_preload_offset 0
		.amdhsa_user_sgpr_private_segment_size 0
		.amdhsa_wavefront_size32 1
		.amdhsa_uses_dynamic_stack 0
		.amdhsa_enable_private_segment 0
		.amdhsa_system_sgpr_workgroup_id_x 1
		.amdhsa_system_sgpr_workgroup_id_y 0
		.amdhsa_system_sgpr_workgroup_id_z 1
		.amdhsa_system_sgpr_workgroup_info 0
		.amdhsa_system_vgpr_workitem_id 0
		.amdhsa_next_free_vgpr 14
		.amdhsa_next_free_sgpr 16
		.amdhsa_named_barrier_count 0
		.amdhsa_reserve_vcc 1
		.amdhsa_float_round_mode_32 0
		.amdhsa_float_round_mode_16_64 0
		.amdhsa_float_denorm_mode_32 3
		.amdhsa_float_denorm_mode_16_64 3
		.amdhsa_fp16_overflow 0
		.amdhsa_memory_ordered 1
		.amdhsa_forward_progress 1
		.amdhsa_inst_pref_size 3
		.amdhsa_round_robin_scheduling 0
		.amdhsa_exception_fp_ieee_invalid_op 0
		.amdhsa_exception_fp_denorm_src 0
		.amdhsa_exception_fp_ieee_div_zero 0
		.amdhsa_exception_fp_ieee_overflow 0
		.amdhsa_exception_fp_ieee_underflow 0
		.amdhsa_exception_fp_ieee_inexact 0
		.amdhsa_exception_int_div_zero 0
	.end_amdhsa_kernel
	.section	.text._ZL19rocblas_scal_kernelIlLi256E19rocblas_complex_numIfES1_PKS1_PKPS1_EviT3_lT4_lT_li,"axG",@progbits,_ZL19rocblas_scal_kernelIlLi256E19rocblas_complex_numIfES1_PKS1_PKPS1_EviT3_lT4_lT_li,comdat
.Lfunc_end146:
	.size	_ZL19rocblas_scal_kernelIlLi256E19rocblas_complex_numIfES1_PKS1_PKPS1_EviT3_lT4_lT_li, .Lfunc_end146-_ZL19rocblas_scal_kernelIlLi256E19rocblas_complex_numIfES1_PKS1_PKPS1_EviT3_lT4_lT_li
                                        ; -- End function
	.set _ZL19rocblas_scal_kernelIlLi256E19rocblas_complex_numIfES1_PKS1_PKPS1_EviT3_lT4_lT_li.num_vgpr, 14
	.set _ZL19rocblas_scal_kernelIlLi256E19rocblas_complex_numIfES1_PKS1_PKPS1_EviT3_lT4_lT_li.num_agpr, 0
	.set _ZL19rocblas_scal_kernelIlLi256E19rocblas_complex_numIfES1_PKS1_PKPS1_EviT3_lT4_lT_li.numbered_sgpr, 16
	.set _ZL19rocblas_scal_kernelIlLi256E19rocblas_complex_numIfES1_PKS1_PKPS1_EviT3_lT4_lT_li.num_named_barrier, 0
	.set _ZL19rocblas_scal_kernelIlLi256E19rocblas_complex_numIfES1_PKS1_PKPS1_EviT3_lT4_lT_li.private_seg_size, 0
	.set _ZL19rocblas_scal_kernelIlLi256E19rocblas_complex_numIfES1_PKS1_PKPS1_EviT3_lT4_lT_li.uses_vcc, 1
	.set _ZL19rocblas_scal_kernelIlLi256E19rocblas_complex_numIfES1_PKS1_PKPS1_EviT3_lT4_lT_li.uses_flat_scratch, 0
	.set _ZL19rocblas_scal_kernelIlLi256E19rocblas_complex_numIfES1_PKS1_PKPS1_EviT3_lT4_lT_li.has_dyn_sized_stack, 0
	.set _ZL19rocblas_scal_kernelIlLi256E19rocblas_complex_numIfES1_PKS1_PKPS1_EviT3_lT4_lT_li.has_recursion, 0
	.set _ZL19rocblas_scal_kernelIlLi256E19rocblas_complex_numIfES1_PKS1_PKPS1_EviT3_lT4_lT_li.has_indirect_call, 0
	.section	.AMDGPU.csdata,"",@progbits
; Kernel info:
; codeLenInByte = 380
; TotalNumSgprs: 18
; NumVgprs: 14
; ScratchSize: 0
; MemoryBound: 0
; FloatMode: 240
; IeeeMode: 1
; LDSByteSize: 0 bytes/workgroup (compile time only)
; SGPRBlocks: 0
; VGPRBlocks: 0
; NumSGPRsForWavesPerEU: 18
; NumVGPRsForWavesPerEU: 14
; NamedBarCnt: 0
; Occupancy: 16
; WaveLimiterHint : 1
; COMPUTE_PGM_RSRC2:SCRATCH_EN: 0
; COMPUTE_PGM_RSRC2:USER_SGPR: 2
; COMPUTE_PGM_RSRC2:TRAP_HANDLER: 0
; COMPUTE_PGM_RSRC2:TGID_X_EN: 1
; COMPUTE_PGM_RSRC2:TGID_Y_EN: 0
; COMPUTE_PGM_RSRC2:TGID_Z_EN: 1
; COMPUTE_PGM_RSRC2:TIDIG_COMP_CNT: 0
	.section	.text._ZL19rocblas_scal_kernelIlLi256E19rocblas_complex_numIfES1_S1_PKPS1_EviT3_lT4_lT_li,"axG",@progbits,_ZL19rocblas_scal_kernelIlLi256E19rocblas_complex_numIfES1_S1_PKPS1_EviT3_lT4_lT_li,comdat
	.globl	_ZL19rocblas_scal_kernelIlLi256E19rocblas_complex_numIfES1_S1_PKPS1_EviT3_lT4_lT_li ; -- Begin function _ZL19rocblas_scal_kernelIlLi256E19rocblas_complex_numIfES1_S1_PKPS1_EviT3_lT4_lT_li
	.p2align	8
	.type	_ZL19rocblas_scal_kernelIlLi256E19rocblas_complex_numIfES1_S1_PKPS1_EviT3_lT4_lT_li,@function
_ZL19rocblas_scal_kernelIlLi256E19rocblas_complex_numIfES1_S1_PKPS1_EviT3_lT4_lT_li: ; @_ZL19rocblas_scal_kernelIlLi256E19rocblas_complex_numIfES1_S1_PKPS1_EviT3_lT4_lT_li
; %bb.0:
	s_load_b32 s11, s[0:1], 0x38
	s_bfe_u32 s2, ttmp6, 0x40014
	s_lshr_b32 s3, ttmp7, 16
	s_add_co_i32 s2, s2, 1
	s_bfe_u32 s5, ttmp6, 0x40008
	s_mul_i32 s4, s3, s2
	s_getreg_b32 s2, hwreg(HW_REG_IB_STS2, 6, 4)
	s_add_co_i32 s5, s5, s4
	s_cmp_eq_u32 s2, 0
	s_cselect_b32 s12, s3, s5
	s_wait_kmcnt 0x0
	s_cmp_ge_u32 s12, s11
	s_cbranch_scc1 .LBB147_5
; %bb.1:
	s_load_b64 s[4:5], s[0:1], 0x28
	s_bfe_u32 s3, ttmp6, 0x4000c
	s_and_b32 s6, ttmp6, 15
	s_add_co_i32 s3, s3, 1
	v_mov_b32_e32 v3, 0
	s_mul_i32 s3, ttmp9, s3
	s_load_b96 s[8:10], s[0:1], 0x0
	s_add_co_i32 s6, s6, s3
	s_cmp_eq_u32 s2, 0
	s_cselect_b32 s2, ttmp9, s6
	s_delay_alu instid0(SALU_CYCLE_1) | instskip(SKIP_1) | instid1(VALU_DEP_1)
	v_lshl_or_b32 v2, s2, 8, v0
	s_wait_kmcnt 0x0
	v_mul_u64_e32 v[0:1], s[4:5], v[2:3]
	s_load_b128 s[4:7], s[0:1], 0x18
	s_cmp_neq_f32 s9, 1.0
	v_cmp_gt_u32_e32 vcc_lo, s8, v2
	s_wait_xcnt 0x0
	s_mov_b32 s0, s9
	s_mov_b32 s8, s10
	s_cselect_b32 s1, -1, 0
	s_cmp_neq_f32 s10, 0
	s_cselect_b32 s2, -1, 0
	s_delay_alu instid0(SALU_CYCLE_1)
	s_or_b32 s2, s1, s2
	s_mov_b32 s1, s10
	s_and_b32 s13, vcc_lo, s2
	s_wait_kmcnt 0x0
	s_lshl_b64 s[2:3], s[6:7], 3
	s_branch .LBB147_3
.LBB147_2:                              ;   in Loop: Header=BB147_3 Depth=1
	s_wait_xcnt 0x0
	s_or_b32 exec_lo, exec_lo, s6
	s_add_co_i32 s12, s12, 0x10000
	s_delay_alu instid0(SALU_CYCLE_1)
	s_cmp_lt_u32 s12, s11
	s_cbranch_scc0 .LBB147_5
.LBB147_3:                              ; =>This Inner Loop Header: Depth=1
	s_and_saveexec_b32 s6, s13
	s_cbranch_execz .LBB147_2
; %bb.4:                                ;   in Loop: Header=BB147_3 Depth=1
	s_load_b64 s[14:15], s[4:5], s12 offset:0x0 scale_offset
	v_mov_b64_e32 v[6:7], s[8:9]
	v_mov_b64_e32 v[8:9], s[0:1]
	s_wait_kmcnt 0x0
	s_add_nc_u64 s[14:15], s[14:15], s[2:3]
	s_delay_alu instid0(VALU_DEP_4) | instid1(SALU_CYCLE_1)
	v_lshl_add_u64 v[2:3], v[0:1], 3, s[14:15]
	flat_load_b64 v[4:5], v[2:3]
	s_wait_loadcnt_dscnt 0x0
	v_pk_mul_f32 v[6:7], v[6:7], v[4:5] op_sel:[0,1]
	s_delay_alu instid0(VALU_DEP_1) | instskip(SKIP_1) | instid1(VALU_DEP_2)
	v_pk_fma_f32 v[10:11], v[8:9], v[4:5], v[6:7] op_sel_hi:[1,0,1]
	v_pk_fma_f32 v[4:5], v[8:9], v[4:5], v[6:7] neg_lo:[0,0,1] neg_hi:[0,0,1]
	v_mov_b32_e32 v5, v11
	flat_store_b64 v[2:3], v[4:5]
	s_branch .LBB147_2
.LBB147_5:
	s_endpgm
	.section	.rodata,"a",@progbits
	.p2align	6, 0x0
	.amdhsa_kernel _ZL19rocblas_scal_kernelIlLi256E19rocblas_complex_numIfES1_S1_PKPS1_EviT3_lT4_lT_li
		.amdhsa_group_segment_fixed_size 0
		.amdhsa_private_segment_fixed_size 0
		.amdhsa_kernarg_size 60
		.amdhsa_user_sgpr_count 2
		.amdhsa_user_sgpr_dispatch_ptr 0
		.amdhsa_user_sgpr_queue_ptr 0
		.amdhsa_user_sgpr_kernarg_segment_ptr 1
		.amdhsa_user_sgpr_dispatch_id 0
		.amdhsa_user_sgpr_kernarg_preload_length 0
		.amdhsa_user_sgpr_kernarg_preload_offset 0
		.amdhsa_user_sgpr_private_segment_size 0
		.amdhsa_wavefront_size32 1
		.amdhsa_uses_dynamic_stack 0
		.amdhsa_enable_private_segment 0
		.amdhsa_system_sgpr_workgroup_id_x 1
		.amdhsa_system_sgpr_workgroup_id_y 0
		.amdhsa_system_sgpr_workgroup_id_z 1
		.amdhsa_system_sgpr_workgroup_info 0
		.amdhsa_system_vgpr_workitem_id 0
		.amdhsa_next_free_vgpr 12
		.amdhsa_next_free_sgpr 16
		.amdhsa_named_barrier_count 0
		.amdhsa_reserve_vcc 1
		.amdhsa_float_round_mode_32 0
		.amdhsa_float_round_mode_16_64 0
		.amdhsa_float_denorm_mode_32 3
		.amdhsa_float_denorm_mode_16_64 3
		.amdhsa_fp16_overflow 0
		.amdhsa_memory_ordered 1
		.amdhsa_forward_progress 1
		.amdhsa_inst_pref_size 3
		.amdhsa_round_robin_scheduling 0
		.amdhsa_exception_fp_ieee_invalid_op 0
		.amdhsa_exception_fp_denorm_src 0
		.amdhsa_exception_fp_ieee_div_zero 0
		.amdhsa_exception_fp_ieee_overflow 0
		.amdhsa_exception_fp_ieee_underflow 0
		.amdhsa_exception_fp_ieee_inexact 0
		.amdhsa_exception_int_div_zero 0
	.end_amdhsa_kernel
	.section	.text._ZL19rocblas_scal_kernelIlLi256E19rocblas_complex_numIfES1_S1_PKPS1_EviT3_lT4_lT_li,"axG",@progbits,_ZL19rocblas_scal_kernelIlLi256E19rocblas_complex_numIfES1_S1_PKPS1_EviT3_lT4_lT_li,comdat
.Lfunc_end147:
	.size	_ZL19rocblas_scal_kernelIlLi256E19rocblas_complex_numIfES1_S1_PKPS1_EviT3_lT4_lT_li, .Lfunc_end147-_ZL19rocblas_scal_kernelIlLi256E19rocblas_complex_numIfES1_S1_PKPS1_EviT3_lT4_lT_li
                                        ; -- End function
	.set _ZL19rocblas_scal_kernelIlLi256E19rocblas_complex_numIfES1_S1_PKPS1_EviT3_lT4_lT_li.num_vgpr, 12
	.set _ZL19rocblas_scal_kernelIlLi256E19rocblas_complex_numIfES1_S1_PKPS1_EviT3_lT4_lT_li.num_agpr, 0
	.set _ZL19rocblas_scal_kernelIlLi256E19rocblas_complex_numIfES1_S1_PKPS1_EviT3_lT4_lT_li.numbered_sgpr, 16
	.set _ZL19rocblas_scal_kernelIlLi256E19rocblas_complex_numIfES1_S1_PKPS1_EviT3_lT4_lT_li.num_named_barrier, 0
	.set _ZL19rocblas_scal_kernelIlLi256E19rocblas_complex_numIfES1_S1_PKPS1_EviT3_lT4_lT_li.private_seg_size, 0
	.set _ZL19rocblas_scal_kernelIlLi256E19rocblas_complex_numIfES1_S1_PKPS1_EviT3_lT4_lT_li.uses_vcc, 1
	.set _ZL19rocblas_scal_kernelIlLi256E19rocblas_complex_numIfES1_S1_PKPS1_EviT3_lT4_lT_li.uses_flat_scratch, 0
	.set _ZL19rocblas_scal_kernelIlLi256E19rocblas_complex_numIfES1_S1_PKPS1_EviT3_lT4_lT_li.has_dyn_sized_stack, 0
	.set _ZL19rocblas_scal_kernelIlLi256E19rocblas_complex_numIfES1_S1_PKPS1_EviT3_lT4_lT_li.has_recursion, 0
	.set _ZL19rocblas_scal_kernelIlLi256E19rocblas_complex_numIfES1_S1_PKPS1_EviT3_lT4_lT_li.has_indirect_call, 0
	.section	.AMDGPU.csdata,"",@progbits
; Kernel info:
; codeLenInByte = 344
; TotalNumSgprs: 18
; NumVgprs: 12
; ScratchSize: 0
; MemoryBound: 0
; FloatMode: 240
; IeeeMode: 1
; LDSByteSize: 0 bytes/workgroup (compile time only)
; SGPRBlocks: 0
; VGPRBlocks: 0
; NumSGPRsForWavesPerEU: 18
; NumVGPRsForWavesPerEU: 12
; NamedBarCnt: 0
; Occupancy: 16
; WaveLimiterHint : 1
; COMPUTE_PGM_RSRC2:SCRATCH_EN: 0
; COMPUTE_PGM_RSRC2:USER_SGPR: 2
; COMPUTE_PGM_RSRC2:TRAP_HANDLER: 0
; COMPUTE_PGM_RSRC2:TGID_X_EN: 1
; COMPUTE_PGM_RSRC2:TGID_Y_EN: 0
; COMPUTE_PGM_RSRC2:TGID_Z_EN: 1
; COMPUTE_PGM_RSRC2:TIDIG_COMP_CNT: 0
	.section	.AMDGPU.gpr_maximums,"",@progbits
	.set amdgpu.max_num_vgpr, 0
	.set amdgpu.max_num_agpr, 0
	.set amdgpu.max_num_sgpr, 0
	.section	.AMDGPU.csdata,"",@progbits
	.type	__hip_cuid_22ece6040aeaf341,@object ; @__hip_cuid_22ece6040aeaf341
	.section	.bss,"aw",@nobits
	.globl	__hip_cuid_22ece6040aeaf341
__hip_cuid_22ece6040aeaf341:
	.byte	0                               ; 0x0
	.size	__hip_cuid_22ece6040aeaf341, 1

	.ident	"AMD clang version 22.0.0git (https://github.com/RadeonOpenCompute/llvm-project roc-7.2.4 26084 f58b06dce1f9c15707c5f808fd002e18c2accf7e)"
	.section	".note.GNU-stack","",@progbits
	.addrsig
	.addrsig_sym __hip_cuid_22ece6040aeaf341
	.amdgpu_metadata
---
amdhsa.kernels:
  - .args:
      - .offset:         0
        .size:           4
        .value_kind:     by_value
      - .address_space:  global
        .offset:         8
        .size:           8
        .value_kind:     global_buffer
      - .offset:         16
        .size:           8
        .value_kind:     by_value
      - .address_space:  global
        .offset:         24
        .size:           8
        .value_kind:     global_buffer
      - .offset:         32
        .size:           8
        .value_kind:     by_value
      - .offset:         40
        .size:           8
        .value_kind:     by_value
      - .offset:         48
        .size:           4
        .value_kind:     by_value
    .group_segment_fixed_size: 0
    .kernarg_segment_align: 8
    .kernarg_segment_size: 52
    .language:       OpenCL C
    .language_version:
      - 2
      - 0
    .max_flat_workgroup_size: 256
    .name:           _ZL22rocblas_sscal_2_kernelILi256EDF16_DF16_PKDF16_PDF16_EviT2_lT3_lli
    .private_segment_fixed_size: 0
    .sgpr_count:     20
    .sgpr_spill_count: 0
    .symbol:         _ZL22rocblas_sscal_2_kernelILi256EDF16_DF16_PKDF16_PDF16_EviT2_lT3_lli.kd
    .uniform_work_group_size: 1
    .uses_dynamic_stack: false
    .vgpr_count:     6
    .vgpr_spill_count: 0
    .wavefront_size: 32
  - .args:
      - .offset:         0
        .size:           4
        .value_kind:     by_value
      - .offset:         4
        .size:           2
        .value_kind:     by_value
      - .offset:         8
        .size:           8
        .value_kind:     by_value
      - .address_space:  global
        .offset:         16
        .size:           8
        .value_kind:     global_buffer
      - .offset:         24
        .size:           8
        .value_kind:     by_value
      - .offset:         32
        .size:           8
        .value_kind:     by_value
      - .offset:         40
        .size:           4
        .value_kind:     by_value
    .group_segment_fixed_size: 0
    .kernarg_segment_align: 8
    .kernarg_segment_size: 44
    .language:       OpenCL C
    .language_version:
      - 2
      - 0
    .max_flat_workgroup_size: 256
    .name:           _ZL22rocblas_sscal_2_kernelILi256EDF16_DF16_DF16_PDF16_EviT2_lT3_lli
    .private_segment_fixed_size: 0
    .sgpr_count:     18
    .sgpr_spill_count: 0
    .symbol:         _ZL22rocblas_sscal_2_kernelILi256EDF16_DF16_DF16_PDF16_EviT2_lT3_lli.kd
    .uniform_work_group_size: 1
    .uses_dynamic_stack: false
    .vgpr_count:     5
    .vgpr_spill_count: 0
    .wavefront_size: 32
  - .args:
      - .offset:         0
        .size:           4
        .value_kind:     by_value
      - .offset:         4
        .size:           4
        .value_kind:     by_value
      - .offset:         8
        .size:           4
        .value_kind:     by_value
      - .address_space:  global
        .offset:         16
        .size:           8
        .value_kind:     global_buffer
      - .offset:         24
        .size:           8
        .value_kind:     by_value
      - .address_space:  global
        .offset:         32
        .size:           8
        .value_kind:     global_buffer
      - .offset:         40
        .size:           8
        .value_kind:     by_value
      - .offset:         48
        .size:           8
        .value_kind:     by_value
      - .offset:         56
        .size:           4
        .value_kind:     by_value
    .group_segment_fixed_size: 0
    .kernarg_segment_align: 8
    .kernarg_segment_size: 60
    .language:       OpenCL C
    .language_version:
      - 2
      - 0
    .max_flat_workgroup_size: 256
    .name:           _ZL26rocblas_hscal_mlt_4_kernelILi256EPKDF16_PDF16_EviiiT0_lT1_lli
    .private_segment_fixed_size: 0
    .sgpr_count:     30
    .sgpr_spill_count: 0
    .symbol:         _ZL26rocblas_hscal_mlt_4_kernelILi256EPKDF16_PDF16_EviiiT0_lT1_lli.kd
    .uniform_work_group_size: 1
    .uses_dynamic_stack: false
    .vgpr_count:     8
    .vgpr_spill_count: 0
    .wavefront_size: 32
  - .args:
      - .offset:         0
        .size:           4
        .value_kind:     by_value
      - .offset:         4
        .size:           4
        .value_kind:     by_value
      - .offset:         8
        .size:           4
        .value_kind:     by_value
      - .offset:         12
        .size:           2
        .value_kind:     by_value
      - .offset:         16
        .size:           8
        .value_kind:     by_value
      - .address_space:  global
        .offset:         24
        .size:           8
        .value_kind:     global_buffer
      - .offset:         32
        .size:           8
        .value_kind:     by_value
      - .offset:         40
        .size:           8
        .value_kind:     by_value
      - .offset:         48
        .size:           4
        .value_kind:     by_value
    .group_segment_fixed_size: 0
    .kernarg_segment_align: 8
    .kernarg_segment_size: 52
    .language:       OpenCL C
    .language_version:
      - 2
      - 0
    .max_flat_workgroup_size: 256
    .name:           _ZL26rocblas_hscal_mlt_4_kernelILi256EDF16_PDF16_EviiiT0_lT1_lli
    .private_segment_fixed_size: 0
    .sgpr_count:     30
    .sgpr_spill_count: 0
    .symbol:         _ZL26rocblas_hscal_mlt_4_kernelILi256EDF16_PDF16_EviiiT0_lT1_lli.kd
    .uniform_work_group_size: 1
    .uses_dynamic_stack: false
    .vgpr_count:     8
    .vgpr_spill_count: 0
    .wavefront_size: 32
  - .args:
      - .offset:         0
        .size:           4
        .value_kind:     by_value
      - .address_space:  global
        .offset:         8
        .size:           8
        .value_kind:     global_buffer
      - .offset:         16
        .size:           8
        .value_kind:     by_value
      - .address_space:  global
        .offset:         24
        .size:           8
        .value_kind:     global_buffer
      - .offset:         32
        .size:           8
        .value_kind:     by_value
      - .offset:         40
        .size:           4
        .value_kind:     by_value
      - .offset:         48
        .size:           8
        .value_kind:     by_value
      - .offset:         56
        .size:           4
        .value_kind:     by_value
    .group_segment_fixed_size: 0
    .kernarg_segment_align: 8
    .kernarg_segment_size: 60
    .language:       OpenCL C
    .language_version:
      - 2
      - 0
    .max_flat_workgroup_size: 256
    .name:           _ZL19rocblas_scal_kernelIiLi256EDF16_DF16_PKDF16_PDF16_EviT3_lT4_lT_li
    .private_segment_fixed_size: 0
    .sgpr_count:     21
    .sgpr_spill_count: 0
    .symbol:         _ZL19rocblas_scal_kernelIiLi256EDF16_DF16_PKDF16_PDF16_EviT3_lT4_lT_li.kd
    .uniform_work_group_size: 1
    .uses_dynamic_stack: false
    .vgpr_count:     7
    .vgpr_spill_count: 0
    .wavefront_size: 32
  - .args:
      - .offset:         0
        .size:           4
        .value_kind:     by_value
      - .offset:         4
        .size:           2
        .value_kind:     by_value
      - .offset:         8
        .size:           8
        .value_kind:     by_value
      - .address_space:  global
        .offset:         16
        .size:           8
        .value_kind:     global_buffer
      - .offset:         24
        .size:           8
        .value_kind:     by_value
      - .offset:         32
        .size:           4
        .value_kind:     by_value
      - .offset:         40
        .size:           8
        .value_kind:     by_value
      - .offset:         48
        .size:           4
        .value_kind:     by_value
    .group_segment_fixed_size: 0
    .kernarg_segment_align: 8
    .kernarg_segment_size: 52
    .language:       OpenCL C
    .language_version:
      - 2
      - 0
    .max_flat_workgroup_size: 256
    .name:           _ZL19rocblas_scal_kernelIiLi256EDF16_DF16_DF16_PDF16_EviT3_lT4_lT_li
    .private_segment_fixed_size: 0
    .sgpr_count:     17
    .sgpr_spill_count: 0
    .symbol:         _ZL19rocblas_scal_kernelIiLi256EDF16_DF16_DF16_PDF16_EviT3_lT4_lT_li.kd
    .uniform_work_group_size: 1
    .uses_dynamic_stack: false
    .vgpr_count:     5
    .vgpr_spill_count: 0
    .wavefront_size: 32
  - .args:
      - .offset:         0
        .size:           4
        .value_kind:     by_value
      - .address_space:  global
        .offset:         8
        .size:           8
        .value_kind:     global_buffer
      - .offset:         16
        .size:           8
        .value_kind:     by_value
      - .address_space:  global
        .offset:         24
        .size:           8
        .value_kind:     global_buffer
      - .offset:         32
        .size:           8
        .value_kind:     by_value
      - .offset:         40
        .size:           8
        .value_kind:     by_value
      - .offset:         48
        .size:           8
        .value_kind:     by_value
      - .offset:         56
        .size:           4
        .value_kind:     by_value
    .group_segment_fixed_size: 0
    .kernarg_segment_align: 8
    .kernarg_segment_size: 60
    .language:       OpenCL C
    .language_version:
      - 2
      - 0
    .max_flat_workgroup_size: 256
    .name:           _ZL19rocblas_scal_kernelIlLi256EDF16_DF16_PKDF16_PDF16_EviT3_lT4_lT_li
    .private_segment_fixed_size: 0
    .sgpr_count:     22
    .sgpr_spill_count: 0
    .symbol:         _ZL19rocblas_scal_kernelIlLi256EDF16_DF16_PKDF16_PDF16_EviT3_lT4_lT_li.kd
    .uniform_work_group_size: 1
    .uses_dynamic_stack: false
    .vgpr_count:     7
    .vgpr_spill_count: 0
    .wavefront_size: 32
  - .args:
      - .offset:         0
        .size:           4
        .value_kind:     by_value
      - .offset:         4
        .size:           2
        .value_kind:     by_value
      - .offset:         8
        .size:           8
        .value_kind:     by_value
      - .address_space:  global
        .offset:         16
        .size:           8
        .value_kind:     global_buffer
      - .offset:         24
        .size:           8
        .value_kind:     by_value
      - .offset:         32
        .size:           8
        .value_kind:     by_value
      - .offset:         40
        .size:           8
        .value_kind:     by_value
      - .offset:         48
        .size:           4
        .value_kind:     by_value
    .group_segment_fixed_size: 0
    .kernarg_segment_align: 8
    .kernarg_segment_size: 52
    .language:       OpenCL C
    .language_version:
      - 2
      - 0
    .max_flat_workgroup_size: 256
    .name:           _ZL19rocblas_scal_kernelIlLi256EDF16_DF16_DF16_PDF16_EviT3_lT4_lT_li
    .private_segment_fixed_size: 0
    .sgpr_count:     18
    .sgpr_spill_count: 0
    .symbol:         _ZL19rocblas_scal_kernelIlLi256EDF16_DF16_DF16_PDF16_EviT3_lT4_lT_li.kd
    .uniform_work_group_size: 1
    .uses_dynamic_stack: false
    .vgpr_count:     5
    .vgpr_spill_count: 0
    .wavefront_size: 32
  - .args:
      - .offset:         0
        .size:           4
        .value_kind:     by_value
      - .address_space:  global
        .offset:         8
        .size:           8
        .value_kind:     global_buffer
      - .offset:         16
        .size:           8
        .value_kind:     by_value
      - .address_space:  global
        .offset:         24
        .size:           8
        .value_kind:     global_buffer
      - .offset:         32
        .size:           8
        .value_kind:     by_value
      - .offset:         40
        .size:           8
        .value_kind:     by_value
      - .offset:         48
        .size:           4
        .value_kind:     by_value
    .group_segment_fixed_size: 0
    .kernarg_segment_align: 8
    .kernarg_segment_size: 52
    .language:       OpenCL C
    .language_version:
      - 2
      - 0
    .max_flat_workgroup_size: 256
    .name:           _ZL22rocblas_sscal_2_kernelILi256EDF16_DF16_PKfPDF16_EviT2_lT3_lli
    .private_segment_fixed_size: 0
    .sgpr_count:     20
    .sgpr_spill_count: 0
    .symbol:         _ZL22rocblas_sscal_2_kernelILi256EDF16_DF16_PKfPDF16_EviT2_lT3_lli.kd
    .uniform_work_group_size: 1
    .uses_dynamic_stack: false
    .vgpr_count:     6
    .vgpr_spill_count: 0
    .wavefront_size: 32
  - .args:
      - .offset:         0
        .size:           4
        .value_kind:     by_value
      - .offset:         4
        .size:           4
        .value_kind:     by_value
      - .offset:         8
        .size:           8
        .value_kind:     by_value
      - .address_space:  global
        .offset:         16
        .size:           8
        .value_kind:     global_buffer
      - .offset:         24
        .size:           8
        .value_kind:     by_value
      - .offset:         32
        .size:           8
        .value_kind:     by_value
      - .offset:         40
        .size:           4
        .value_kind:     by_value
    .group_segment_fixed_size: 0
    .kernarg_segment_align: 8
    .kernarg_segment_size: 44
    .language:       OpenCL C
    .language_version:
      - 2
      - 0
    .max_flat_workgroup_size: 256
    .name:           _ZL22rocblas_sscal_2_kernelILi256EDF16_DF16_fPDF16_EviT2_lT3_lli
    .private_segment_fixed_size: 0
    .sgpr_count:     18
    .sgpr_spill_count: 0
    .symbol:         _ZL22rocblas_sscal_2_kernelILi256EDF16_DF16_fPDF16_EviT2_lT3_lli.kd
    .uniform_work_group_size: 1
    .uses_dynamic_stack: false
    .vgpr_count:     8
    .vgpr_spill_count: 0
    .wavefront_size: 32
  - .args:
      - .offset:         0
        .size:           4
        .value_kind:     by_value
      - .address_space:  global
        .offset:         8
        .size:           8
        .value_kind:     global_buffer
      - .offset:         16
        .size:           8
        .value_kind:     by_value
      - .address_space:  global
        .offset:         24
        .size:           8
        .value_kind:     global_buffer
      - .offset:         32
        .size:           8
        .value_kind:     by_value
      - .offset:         40
        .size:           4
        .value_kind:     by_value
      - .offset:         48
        .size:           8
        .value_kind:     by_value
      - .offset:         56
        .size:           4
        .value_kind:     by_value
    .group_segment_fixed_size: 0
    .kernarg_segment_align: 8
    .kernarg_segment_size: 60
    .language:       OpenCL C
    .language_version:
      - 2
      - 0
    .max_flat_workgroup_size: 256
    .name:           _ZL19rocblas_scal_kernelIiLi256EDF16_DF16_PKfPDF16_EviT3_lT4_lT_li
    .private_segment_fixed_size: 0
    .sgpr_count:     21
    .sgpr_spill_count: 0
    .symbol:         _ZL19rocblas_scal_kernelIiLi256EDF16_DF16_PKfPDF16_EviT3_lT4_lT_li.kd
    .uniform_work_group_size: 1
    .uses_dynamic_stack: false
    .vgpr_count:     5
    .vgpr_spill_count: 0
    .wavefront_size: 32
  - .args:
      - .offset:         0
        .size:           4
        .value_kind:     by_value
      - .offset:         4
        .size:           4
        .value_kind:     by_value
      - .offset:         8
        .size:           8
        .value_kind:     by_value
      - .address_space:  global
        .offset:         16
        .size:           8
        .value_kind:     global_buffer
      - .offset:         24
        .size:           8
        .value_kind:     by_value
      - .offset:         32
        .size:           4
        .value_kind:     by_value
      - .offset:         40
        .size:           8
        .value_kind:     by_value
      - .offset:         48
        .size:           4
        .value_kind:     by_value
    .group_segment_fixed_size: 0
    .kernarg_segment_align: 8
    .kernarg_segment_size: 52
    .language:       OpenCL C
    .language_version:
      - 2
      - 0
    .max_flat_workgroup_size: 256
    .name:           _ZL19rocblas_scal_kernelIiLi256EDF16_DF16_fPDF16_EviT3_lT4_lT_li
    .private_segment_fixed_size: 0
    .sgpr_count:     17
    .sgpr_spill_count: 0
    .symbol:         _ZL19rocblas_scal_kernelIiLi256EDF16_DF16_fPDF16_EviT3_lT4_lT_li.kd
    .uniform_work_group_size: 1
    .uses_dynamic_stack: false
    .vgpr_count:     5
    .vgpr_spill_count: 0
    .wavefront_size: 32
  - .args:
      - .offset:         0
        .size:           4
        .value_kind:     by_value
      - .address_space:  global
        .offset:         8
        .size:           8
        .value_kind:     global_buffer
      - .offset:         16
        .size:           8
        .value_kind:     by_value
      - .address_space:  global
        .offset:         24
        .size:           8
        .value_kind:     global_buffer
      - .offset:         32
        .size:           8
        .value_kind:     by_value
      - .offset:         40
        .size:           8
        .value_kind:     by_value
      - .offset:         48
        .size:           8
        .value_kind:     by_value
      - .offset:         56
        .size:           4
        .value_kind:     by_value
    .group_segment_fixed_size: 0
    .kernarg_segment_align: 8
    .kernarg_segment_size: 60
    .language:       OpenCL C
    .language_version:
      - 2
      - 0
    .max_flat_workgroup_size: 256
    .name:           _ZL19rocblas_scal_kernelIlLi256EDF16_DF16_PKfPDF16_EviT3_lT4_lT_li
    .private_segment_fixed_size: 0
    .sgpr_count:     22
    .sgpr_spill_count: 0
    .symbol:         _ZL19rocblas_scal_kernelIlLi256EDF16_DF16_PKfPDF16_EviT3_lT4_lT_li.kd
    .uniform_work_group_size: 1
    .uses_dynamic_stack: false
    .vgpr_count:     5
    .vgpr_spill_count: 0
    .wavefront_size: 32
  - .args:
      - .offset:         0
        .size:           4
        .value_kind:     by_value
      - .offset:         4
        .size:           4
        .value_kind:     by_value
      - .offset:         8
        .size:           8
        .value_kind:     by_value
      - .address_space:  global
        .offset:         16
        .size:           8
        .value_kind:     global_buffer
      - .offset:         24
        .size:           8
        .value_kind:     by_value
      - .offset:         32
        .size:           8
        .value_kind:     by_value
      - .offset:         40
        .size:           8
        .value_kind:     by_value
      - .offset:         48
        .size:           4
        .value_kind:     by_value
    .group_segment_fixed_size: 0
    .kernarg_segment_align: 8
    .kernarg_segment_size: 52
    .language:       OpenCL C
    .language_version:
      - 2
      - 0
    .max_flat_workgroup_size: 256
    .name:           _ZL19rocblas_scal_kernelIlLi256EDF16_DF16_fPDF16_EviT3_lT4_lT_li
    .private_segment_fixed_size: 0
    .sgpr_count:     18
    .sgpr_spill_count: 0
    .symbol:         _ZL19rocblas_scal_kernelIlLi256EDF16_DF16_fPDF16_EviT3_lT4_lT_li.kd
    .uniform_work_group_size: 1
    .uses_dynamic_stack: false
    .vgpr_count:     5
    .vgpr_spill_count: 0
    .wavefront_size: 32
  - .args:
      - .offset:         0
        .size:           4
        .value_kind:     by_value
      - .address_space:  global
        .offset:         8
        .size:           8
        .value_kind:     global_buffer
      - .offset:         16
        .size:           8
        .value_kind:     by_value
      - .address_space:  global
        .offset:         24
        .size:           8
        .value_kind:     global_buffer
      - .offset:         32
        .size:           8
        .value_kind:     by_value
      - .offset:         40
        .size:           8
        .value_kind:     by_value
      - .offset:         48
        .size:           4
        .value_kind:     by_value
    .group_segment_fixed_size: 0
    .kernarg_segment_align: 8
    .kernarg_segment_size: 52
    .language:       OpenCL C
    .language_version:
      - 2
      - 0
    .max_flat_workgroup_size: 256
    .name:           _ZL22rocblas_sscal_2_kernelILi256EffPKfPfEviT2_lT3_lli
    .private_segment_fixed_size: 0
    .sgpr_count:     20
    .sgpr_spill_count: 0
    .symbol:         _ZL22rocblas_sscal_2_kernelILi256EffPKfPfEviT2_lT3_lli.kd
    .uniform_work_group_size: 1
    .uses_dynamic_stack: false
    .vgpr_count:     6
    .vgpr_spill_count: 0
    .wavefront_size: 32
  - .args:
      - .offset:         0
        .size:           4
        .value_kind:     by_value
      - .offset:         4
        .size:           4
        .value_kind:     by_value
      - .offset:         8
        .size:           8
        .value_kind:     by_value
      - .address_space:  global
        .offset:         16
        .size:           8
        .value_kind:     global_buffer
      - .offset:         24
        .size:           8
        .value_kind:     by_value
      - .offset:         32
        .size:           8
        .value_kind:     by_value
      - .offset:         40
        .size:           4
        .value_kind:     by_value
    .group_segment_fixed_size: 0
    .kernarg_segment_align: 8
    .kernarg_segment_size: 44
    .language:       OpenCL C
    .language_version:
      - 2
      - 0
    .max_flat_workgroup_size: 256
    .name:           _ZL22rocblas_sscal_2_kernelILi256EfffPfEviT2_lT3_lli
    .private_segment_fixed_size: 0
    .sgpr_count:     18
    .sgpr_spill_count: 0
    .symbol:         _ZL22rocblas_sscal_2_kernelILi256EfffPfEviT2_lT3_lli.kd
    .uniform_work_group_size: 1
    .uses_dynamic_stack: false
    .vgpr_count:     8
    .vgpr_spill_count: 0
    .wavefront_size: 32
  - .args:
      - .offset:         0
        .size:           4
        .value_kind:     by_value
      - .address_space:  global
        .offset:         8
        .size:           8
        .value_kind:     global_buffer
      - .offset:         16
        .size:           8
        .value_kind:     by_value
      - .address_space:  global
        .offset:         24
        .size:           8
        .value_kind:     global_buffer
      - .offset:         32
        .size:           8
        .value_kind:     by_value
      - .offset:         40
        .size:           4
        .value_kind:     by_value
      - .offset:         48
        .size:           8
        .value_kind:     by_value
      - .offset:         56
        .size:           4
        .value_kind:     by_value
    .group_segment_fixed_size: 0
    .kernarg_segment_align: 8
    .kernarg_segment_size: 60
    .language:       OpenCL C
    .language_version:
      - 2
      - 0
    .max_flat_workgroup_size: 256
    .name:           _ZL19rocblas_scal_kernelIiLi256EffPKfPfEviT3_lT4_lT_li
    .private_segment_fixed_size: 0
    .sgpr_count:     21
    .sgpr_spill_count: 0
    .symbol:         _ZL19rocblas_scal_kernelIiLi256EffPKfPfEviT3_lT4_lT_li.kd
    .uniform_work_group_size: 1
    .uses_dynamic_stack: false
    .vgpr_count:     7
    .vgpr_spill_count: 0
    .wavefront_size: 32
  - .args:
      - .offset:         0
        .size:           4
        .value_kind:     by_value
      - .offset:         4
        .size:           4
        .value_kind:     by_value
      - .offset:         8
        .size:           8
        .value_kind:     by_value
      - .address_space:  global
        .offset:         16
        .size:           8
        .value_kind:     global_buffer
      - .offset:         24
        .size:           8
        .value_kind:     by_value
      - .offset:         32
        .size:           4
        .value_kind:     by_value
      - .offset:         40
        .size:           8
        .value_kind:     by_value
      - .offset:         48
        .size:           4
        .value_kind:     by_value
    .group_segment_fixed_size: 0
    .kernarg_segment_align: 8
    .kernarg_segment_size: 52
    .language:       OpenCL C
    .language_version:
      - 2
      - 0
    .max_flat_workgroup_size: 256
    .name:           _ZL19rocblas_scal_kernelIiLi256EfffPfEviT3_lT4_lT_li
    .private_segment_fixed_size: 0
    .sgpr_count:     17
    .sgpr_spill_count: 0
    .symbol:         _ZL19rocblas_scal_kernelIiLi256EfffPfEviT3_lT4_lT_li.kd
    .uniform_work_group_size: 1
    .uses_dynamic_stack: false
    .vgpr_count:     5
    .vgpr_spill_count: 0
    .wavefront_size: 32
  - .args:
      - .offset:         0
        .size:           4
        .value_kind:     by_value
      - .address_space:  global
        .offset:         8
        .size:           8
        .value_kind:     global_buffer
      - .offset:         16
        .size:           8
        .value_kind:     by_value
      - .address_space:  global
        .offset:         24
        .size:           8
        .value_kind:     global_buffer
      - .offset:         32
        .size:           8
        .value_kind:     by_value
      - .offset:         40
        .size:           8
        .value_kind:     by_value
      - .offset:         48
        .size:           8
        .value_kind:     by_value
      - .offset:         56
        .size:           4
        .value_kind:     by_value
    .group_segment_fixed_size: 0
    .kernarg_segment_align: 8
    .kernarg_segment_size: 60
    .language:       OpenCL C
    .language_version:
      - 2
      - 0
    .max_flat_workgroup_size: 256
    .name:           _ZL19rocblas_scal_kernelIlLi256EffPKfPfEviT3_lT4_lT_li
    .private_segment_fixed_size: 0
    .sgpr_count:     22
    .sgpr_spill_count: 0
    .symbol:         _ZL19rocblas_scal_kernelIlLi256EffPKfPfEviT3_lT4_lT_li.kd
    .uniform_work_group_size: 1
    .uses_dynamic_stack: false
    .vgpr_count:     7
    .vgpr_spill_count: 0
    .wavefront_size: 32
  - .args:
      - .offset:         0
        .size:           4
        .value_kind:     by_value
      - .offset:         4
        .size:           4
        .value_kind:     by_value
      - .offset:         8
        .size:           8
        .value_kind:     by_value
      - .address_space:  global
        .offset:         16
        .size:           8
        .value_kind:     global_buffer
      - .offset:         24
        .size:           8
        .value_kind:     by_value
      - .offset:         32
        .size:           8
        .value_kind:     by_value
      - .offset:         40
        .size:           8
        .value_kind:     by_value
      - .offset:         48
        .size:           4
        .value_kind:     by_value
    .group_segment_fixed_size: 0
    .kernarg_segment_align: 8
    .kernarg_segment_size: 52
    .language:       OpenCL C
    .language_version:
      - 2
      - 0
    .max_flat_workgroup_size: 256
    .name:           _ZL19rocblas_scal_kernelIlLi256EfffPfEviT3_lT4_lT_li
    .private_segment_fixed_size: 0
    .sgpr_count:     18
    .sgpr_spill_count: 0
    .symbol:         _ZL19rocblas_scal_kernelIlLi256EfffPfEviT3_lT4_lT_li.kd
    .uniform_work_group_size: 1
    .uses_dynamic_stack: false
    .vgpr_count:     5
    .vgpr_spill_count: 0
    .wavefront_size: 32
  - .args:
      - .offset:         0
        .size:           4
        .value_kind:     by_value
      - .address_space:  global
        .offset:         8
        .size:           8
        .value_kind:     global_buffer
      - .offset:         16
        .size:           8
        .value_kind:     by_value
      - .address_space:  global
        .offset:         24
        .size:           8
        .value_kind:     global_buffer
      - .offset:         32
        .size:           8
        .value_kind:     by_value
      - .offset:         40
        .size:           8
        .value_kind:     by_value
      - .offset:         48
        .size:           4
        .value_kind:     by_value
    .group_segment_fixed_size: 0
    .kernarg_segment_align: 8
    .kernarg_segment_size: 52
    .language:       OpenCL C
    .language_version:
      - 2
      - 0
    .max_flat_workgroup_size: 256
    .name:           _ZL22rocblas_sscal_2_kernelILi256E19rocblas_complex_numIdES1_PKS1_PS1_EviT2_lT3_lli
    .private_segment_fixed_size: 0
    .sgpr_count:     22
    .sgpr_spill_count: 0
    .symbol:         _ZL22rocblas_sscal_2_kernelILi256E19rocblas_complex_numIdES1_PKS1_PS1_EviT2_lT3_lli.kd
    .uniform_work_group_size: 1
    .uses_dynamic_stack: false
    .vgpr_count:     18
    .vgpr_spill_count: 0
    .wavefront_size: 32
  - .args:
      - .offset:         0
        .size:           4
        .value_kind:     by_value
      - .offset:         8
        .size:           16
        .value_kind:     by_value
      - .offset:         24
        .size:           8
        .value_kind:     by_value
      - .address_space:  global
        .offset:         32
        .size:           8
        .value_kind:     global_buffer
      - .offset:         40
        .size:           8
        .value_kind:     by_value
      - .offset:         48
        .size:           8
        .value_kind:     by_value
      - .offset:         56
        .size:           4
        .value_kind:     by_value
    .group_segment_fixed_size: 0
    .kernarg_segment_align: 8
    .kernarg_segment_size: 60
    .language:       OpenCL C
    .language_version:
      - 2
      - 0
    .max_flat_workgroup_size: 256
    .name:           _ZL22rocblas_sscal_2_kernelILi256E19rocblas_complex_numIdES1_S1_PS1_EviT2_lT3_lli
    .private_segment_fixed_size: 0
    .sgpr_count:     22
    .sgpr_spill_count: 0
    .symbol:         _ZL22rocblas_sscal_2_kernelILi256E19rocblas_complex_numIdES1_S1_PS1_EviT2_lT3_lli.kd
    .uniform_work_group_size: 1
    .uses_dynamic_stack: false
    .vgpr_count:     18
    .vgpr_spill_count: 0
    .wavefront_size: 32
  - .args:
      - .offset:         0
        .size:           4
        .value_kind:     by_value
      - .address_space:  global
        .offset:         8
        .size:           8
        .value_kind:     global_buffer
      - .offset:         16
        .size:           8
        .value_kind:     by_value
      - .address_space:  global
        .offset:         24
        .size:           8
        .value_kind:     global_buffer
      - .offset:         32
        .size:           8
        .value_kind:     by_value
      - .offset:         40
        .size:           4
        .value_kind:     by_value
      - .offset:         48
        .size:           8
        .value_kind:     by_value
      - .offset:         56
        .size:           4
        .value_kind:     by_value
    .group_segment_fixed_size: 0
    .kernarg_segment_align: 8
    .kernarg_segment_size: 60
    .language:       OpenCL C
    .language_version:
      - 2
      - 0
    .max_flat_workgroup_size: 256
    .name:           _ZL19rocblas_scal_kernelIiLi256E19rocblas_complex_numIdES1_PKS1_PS1_EviT3_lT4_lT_li
    .private_segment_fixed_size: 0
    .sgpr_count:     21
    .sgpr_spill_count: 0
    .symbol:         _ZL19rocblas_scal_kernelIiLi256E19rocblas_complex_numIdES1_PKS1_PS1_EviT3_lT4_lT_li.kd
    .uniform_work_group_size: 1
    .uses_dynamic_stack: false
    .vgpr_count:     18
    .vgpr_spill_count: 0
    .wavefront_size: 32
  - .args:
      - .offset:         0
        .size:           4
        .value_kind:     by_value
      - .offset:         8
        .size:           16
        .value_kind:     by_value
      - .offset:         24
        .size:           8
        .value_kind:     by_value
      - .address_space:  global
        .offset:         32
        .size:           8
        .value_kind:     global_buffer
      - .offset:         40
        .size:           8
        .value_kind:     by_value
      - .offset:         48
        .size:           4
        .value_kind:     by_value
      - .offset:         56
        .size:           8
        .value_kind:     by_value
      - .offset:         64
        .size:           4
        .value_kind:     by_value
    .group_segment_fixed_size: 0
    .kernarg_segment_align: 8
    .kernarg_segment_size: 68
    .language:       OpenCL C
    .language_version:
      - 2
      - 0
    .max_flat_workgroup_size: 256
    .name:           _ZL19rocblas_scal_kernelIiLi256E19rocblas_complex_numIdES1_S1_PS1_EviT3_lT4_lT_li
    .private_segment_fixed_size: 0
    .sgpr_count:     20
    .sgpr_spill_count: 0
    .symbol:         _ZL19rocblas_scal_kernelIiLi256E19rocblas_complex_numIdES1_S1_PS1_EviT3_lT4_lT_li.kd
    .uniform_work_group_size: 1
    .uses_dynamic_stack: false
    .vgpr_count:     12
    .vgpr_spill_count: 0
    .wavefront_size: 32
  - .args:
      - .offset:         0
        .size:           4
        .value_kind:     by_value
      - .address_space:  global
        .offset:         8
        .size:           8
        .value_kind:     global_buffer
      - .offset:         16
        .size:           8
        .value_kind:     by_value
      - .address_space:  global
        .offset:         24
        .size:           8
        .value_kind:     global_buffer
      - .offset:         32
        .size:           8
        .value_kind:     by_value
      - .offset:         40
        .size:           8
        .value_kind:     by_value
      - .offset:         48
        .size:           8
        .value_kind:     by_value
      - .offset:         56
        .size:           4
        .value_kind:     by_value
    .group_segment_fixed_size: 0
    .kernarg_segment_align: 8
    .kernarg_segment_size: 60
    .language:       OpenCL C
    .language_version:
      - 2
      - 0
    .max_flat_workgroup_size: 256
    .name:           _ZL19rocblas_scal_kernelIlLi256E19rocblas_complex_numIdES1_PKS1_PS1_EviT3_lT4_lT_li
    .private_segment_fixed_size: 0
    .sgpr_count:     22
    .sgpr_spill_count: 0
    .symbol:         _ZL19rocblas_scal_kernelIlLi256E19rocblas_complex_numIdES1_PKS1_PS1_EviT3_lT4_lT_li.kd
    .uniform_work_group_size: 1
    .uses_dynamic_stack: false
    .vgpr_count:     18
    .vgpr_spill_count: 0
    .wavefront_size: 32
  - .args:
      - .offset:         0
        .size:           4
        .value_kind:     by_value
      - .offset:         8
        .size:           16
        .value_kind:     by_value
      - .offset:         24
        .size:           8
        .value_kind:     by_value
      - .address_space:  global
        .offset:         32
        .size:           8
        .value_kind:     global_buffer
      - .offset:         40
        .size:           8
        .value_kind:     by_value
      - .offset:         48
        .size:           8
        .value_kind:     by_value
      - .offset:         56
        .size:           8
        .value_kind:     by_value
      - .offset:         64
        .size:           4
        .value_kind:     by_value
    .group_segment_fixed_size: 0
    .kernarg_segment_align: 8
    .kernarg_segment_size: 68
    .language:       OpenCL C
    .language_version:
      - 2
      - 0
    .max_flat_workgroup_size: 256
    .name:           _ZL19rocblas_scal_kernelIlLi256E19rocblas_complex_numIdES1_S1_PS1_EviT3_lT4_lT_li
    .private_segment_fixed_size: 0
    .sgpr_count:     22
    .sgpr_spill_count: 0
    .symbol:         _ZL19rocblas_scal_kernelIlLi256E19rocblas_complex_numIdES1_S1_PS1_EviT3_lT4_lT_li.kd
    .uniform_work_group_size: 1
    .uses_dynamic_stack: false
    .vgpr_count:     12
    .vgpr_spill_count: 0
    .wavefront_size: 32
  - .args:
      - .offset:         0
        .size:           4
        .value_kind:     by_value
      - .address_space:  global
        .offset:         8
        .size:           8
        .value_kind:     global_buffer
      - .offset:         16
        .size:           8
        .value_kind:     by_value
      - .address_space:  global
        .offset:         24
        .size:           8
        .value_kind:     global_buffer
      - .offset:         32
        .size:           8
        .value_kind:     by_value
      - .offset:         40
        .size:           8
        .value_kind:     by_value
      - .offset:         48
        .size:           4
        .value_kind:     by_value
    .group_segment_fixed_size: 0
    .kernarg_segment_align: 8
    .kernarg_segment_size: 52
    .language:       OpenCL C
    .language_version:
      - 2
      - 0
    .max_flat_workgroup_size: 256
    .name:           _ZL22rocblas_sscal_2_kernelILi256E19rocblas_complex_numIfES1_PKfPS1_EviT2_lT3_lli
    .private_segment_fixed_size: 0
    .sgpr_count:     20
    .sgpr_spill_count: 0
    .symbol:         _ZL22rocblas_sscal_2_kernelILi256E19rocblas_complex_numIfES1_PKfPS1_EviT2_lT3_lli.kd
    .uniform_work_group_size: 1
    .uses_dynamic_stack: false
    .vgpr_count:     18
    .vgpr_spill_count: 0
    .wavefront_size: 32
  - .args:
      - .offset:         0
        .size:           4
        .value_kind:     by_value
      - .offset:         4
        .size:           4
        .value_kind:     by_value
      - .offset:         8
        .size:           8
        .value_kind:     by_value
      - .address_space:  global
        .offset:         16
        .size:           8
        .value_kind:     global_buffer
      - .offset:         24
        .size:           8
        .value_kind:     by_value
      - .offset:         32
        .size:           8
        .value_kind:     by_value
      - .offset:         40
        .size:           4
        .value_kind:     by_value
    .group_segment_fixed_size: 0
    .kernarg_segment_align: 8
    .kernarg_segment_size: 44
    .language:       OpenCL C
    .language_version:
      - 2
      - 0
    .max_flat_workgroup_size: 256
    .name:           _ZL22rocblas_sscal_2_kernelILi256E19rocblas_complex_numIfES1_fPS1_EviT2_lT3_lli
    .private_segment_fixed_size: 0
    .sgpr_count:     18
    .sgpr_spill_count: 0
    .symbol:         _ZL22rocblas_sscal_2_kernelILi256E19rocblas_complex_numIfES1_fPS1_EviT2_lT3_lli.kd
    .uniform_work_group_size: 1
    .uses_dynamic_stack: false
    .vgpr_count:     18
    .vgpr_spill_count: 0
    .wavefront_size: 32
  - .args:
      - .offset:         0
        .size:           4
        .value_kind:     by_value
      - .address_space:  global
        .offset:         8
        .size:           8
        .value_kind:     global_buffer
      - .offset:         16
        .size:           8
        .value_kind:     by_value
      - .address_space:  global
        .offset:         24
        .size:           8
        .value_kind:     global_buffer
      - .offset:         32
        .size:           8
        .value_kind:     by_value
      - .offset:         40
        .size:           4
        .value_kind:     by_value
      - .offset:         48
        .size:           8
        .value_kind:     by_value
      - .offset:         56
        .size:           4
        .value_kind:     by_value
    .group_segment_fixed_size: 0
    .kernarg_segment_align: 8
    .kernarg_segment_size: 60
    .language:       OpenCL C
    .language_version:
      - 2
      - 0
    .max_flat_workgroup_size: 256
    .name:           _ZL19rocblas_scal_kernelIiLi256E19rocblas_complex_numIfES1_PKfPS1_EviT3_lT4_lT_li
    .private_segment_fixed_size: 0
    .sgpr_count:     21
    .sgpr_spill_count: 0
    .symbol:         _ZL19rocblas_scal_kernelIiLi256E19rocblas_complex_numIfES1_PKfPS1_EviT3_lT4_lT_li.kd
    .uniform_work_group_size: 1
    .uses_dynamic_stack: false
    .vgpr_count:     12
    .vgpr_spill_count: 0
    .wavefront_size: 32
  - .args:
      - .offset:         0
        .size:           4
        .value_kind:     by_value
      - .offset:         4
        .size:           4
        .value_kind:     by_value
      - .offset:         8
        .size:           8
        .value_kind:     by_value
      - .address_space:  global
        .offset:         16
        .size:           8
        .value_kind:     global_buffer
      - .offset:         24
        .size:           8
        .value_kind:     by_value
      - .offset:         32
        .size:           4
        .value_kind:     by_value
      - .offset:         40
        .size:           8
        .value_kind:     by_value
      - .offset:         48
        .size:           4
        .value_kind:     by_value
    .group_segment_fixed_size: 0
    .kernarg_segment_align: 8
    .kernarg_segment_size: 52
    .language:       OpenCL C
    .language_version:
      - 2
      - 0
    .max_flat_workgroup_size: 256
    .name:           _ZL19rocblas_scal_kernelIiLi256E19rocblas_complex_numIfES1_fPS1_EviT3_lT4_lT_li
    .private_segment_fixed_size: 0
    .sgpr_count:     17
    .sgpr_spill_count: 0
    .symbol:         _ZL19rocblas_scal_kernelIiLi256E19rocblas_complex_numIfES1_fPS1_EviT3_lT4_lT_li.kd
    .uniform_work_group_size: 1
    .uses_dynamic_stack: false
    .vgpr_count:     12
    .vgpr_spill_count: 0
    .wavefront_size: 32
  - .args:
      - .offset:         0
        .size:           4
        .value_kind:     by_value
      - .address_space:  global
        .offset:         8
        .size:           8
        .value_kind:     global_buffer
      - .offset:         16
        .size:           8
        .value_kind:     by_value
      - .address_space:  global
        .offset:         24
        .size:           8
        .value_kind:     global_buffer
      - .offset:         32
        .size:           8
        .value_kind:     by_value
      - .offset:         40
        .size:           8
        .value_kind:     by_value
      - .offset:         48
        .size:           8
        .value_kind:     by_value
      - .offset:         56
        .size:           4
        .value_kind:     by_value
    .group_segment_fixed_size: 0
    .kernarg_segment_align: 8
    .kernarg_segment_size: 60
    .language:       OpenCL C
    .language_version:
      - 2
      - 0
    .max_flat_workgroup_size: 256
    .name:           _ZL19rocblas_scal_kernelIlLi256E19rocblas_complex_numIfES1_PKfPS1_EviT3_lT4_lT_li
    .private_segment_fixed_size: 0
    .sgpr_count:     22
    .sgpr_spill_count: 0
    .symbol:         _ZL19rocblas_scal_kernelIlLi256E19rocblas_complex_numIfES1_PKfPS1_EviT3_lT4_lT_li.kd
    .uniform_work_group_size: 1
    .uses_dynamic_stack: false
    .vgpr_count:     12
    .vgpr_spill_count: 0
    .wavefront_size: 32
  - .args:
      - .offset:         0
        .size:           4
        .value_kind:     by_value
      - .offset:         4
        .size:           4
        .value_kind:     by_value
      - .offset:         8
        .size:           8
        .value_kind:     by_value
      - .address_space:  global
        .offset:         16
        .size:           8
        .value_kind:     global_buffer
      - .offset:         24
        .size:           8
        .value_kind:     by_value
      - .offset:         32
        .size:           8
        .value_kind:     by_value
      - .offset:         40
        .size:           8
        .value_kind:     by_value
      - .offset:         48
        .size:           4
        .value_kind:     by_value
    .group_segment_fixed_size: 0
    .kernarg_segment_align: 8
    .kernarg_segment_size: 52
    .language:       OpenCL C
    .language_version:
      - 2
      - 0
    .max_flat_workgroup_size: 256
    .name:           _ZL19rocblas_scal_kernelIlLi256E19rocblas_complex_numIfES1_fPS1_EviT3_lT4_lT_li
    .private_segment_fixed_size: 0
    .sgpr_count:     18
    .sgpr_spill_count: 0
    .symbol:         _ZL19rocblas_scal_kernelIlLi256E19rocblas_complex_numIfES1_fPS1_EviT3_lT4_lT_li.kd
    .uniform_work_group_size: 1
    .uses_dynamic_stack: false
    .vgpr_count:     12
    .vgpr_spill_count: 0
    .wavefront_size: 32
  - .args:
      - .offset:         0
        .size:           4
        .value_kind:     by_value
      - .address_space:  global
        .offset:         8
        .size:           8
        .value_kind:     global_buffer
      - .offset:         16
        .size:           8
        .value_kind:     by_value
      - .address_space:  global
        .offset:         24
        .size:           8
        .value_kind:     global_buffer
      - .offset:         32
        .size:           8
        .value_kind:     by_value
      - .offset:         40
        .size:           8
        .value_kind:     by_value
      - .offset:         48
        .size:           4
        .value_kind:     by_value
    .group_segment_fixed_size: 0
    .kernarg_segment_align: 8
    .kernarg_segment_size: 52
    .language:       OpenCL C
    .language_version:
      - 2
      - 0
    .max_flat_workgroup_size: 256
    .name:           _ZL22rocblas_sscal_2_kernelILi256E19rocblas_complex_numIdES1_PKdPS1_EviT2_lT3_lli
    .private_segment_fixed_size: 0
    .sgpr_count:     20
    .sgpr_spill_count: 0
    .symbol:         _ZL22rocblas_sscal_2_kernelILi256E19rocblas_complex_numIdES1_PKdPS1_EviT2_lT3_lli.kd
    .uniform_work_group_size: 1
    .uses_dynamic_stack: false
    .vgpr_count:     18
    .vgpr_spill_count: 0
    .wavefront_size: 32
  - .args:
      - .offset:         0
        .size:           4
        .value_kind:     by_value
      - .offset:         8
        .size:           8
        .value_kind:     by_value
      - .offset:         16
        .size:           8
        .value_kind:     by_value
      - .address_space:  global
        .offset:         24
        .size:           8
        .value_kind:     global_buffer
      - .offset:         32
        .size:           8
        .value_kind:     by_value
      - .offset:         40
        .size:           8
        .value_kind:     by_value
      - .offset:         48
        .size:           4
        .value_kind:     by_value
    .group_segment_fixed_size: 0
    .kernarg_segment_align: 8
    .kernarg_segment_size: 52
    .language:       OpenCL C
    .language_version:
      - 2
      - 0
    .max_flat_workgroup_size: 256
    .name:           _ZL22rocblas_sscal_2_kernelILi256E19rocblas_complex_numIdES1_dPS1_EviT2_lT3_lli
    .private_segment_fixed_size: 0
    .sgpr_count:     18
    .sgpr_spill_count: 0
    .symbol:         _ZL22rocblas_sscal_2_kernelILi256E19rocblas_complex_numIdES1_dPS1_EviT2_lT3_lli.kd
    .uniform_work_group_size: 1
    .uses_dynamic_stack: false
    .vgpr_count:     18
    .vgpr_spill_count: 0
    .wavefront_size: 32
  - .args:
      - .offset:         0
        .size:           4
        .value_kind:     by_value
      - .address_space:  global
        .offset:         8
        .size:           8
        .value_kind:     global_buffer
      - .offset:         16
        .size:           8
        .value_kind:     by_value
      - .address_space:  global
        .offset:         24
        .size:           8
        .value_kind:     global_buffer
      - .offset:         32
        .size:           8
        .value_kind:     by_value
      - .offset:         40
        .size:           4
        .value_kind:     by_value
      - .offset:         48
        .size:           8
        .value_kind:     by_value
      - .offset:         56
        .size:           4
        .value_kind:     by_value
    .group_segment_fixed_size: 0
    .kernarg_segment_align: 8
    .kernarg_segment_size: 60
    .language:       OpenCL C
    .language_version:
      - 2
      - 0
    .max_flat_workgroup_size: 256
    .name:           _ZL19rocblas_scal_kernelIiLi256E19rocblas_complex_numIdES1_PKdPS1_EviT3_lT4_lT_li
    .private_segment_fixed_size: 0
    .sgpr_count:     21
    .sgpr_spill_count: 0
    .symbol:         _ZL19rocblas_scal_kernelIiLi256E19rocblas_complex_numIdES1_PKdPS1_EviT3_lT4_lT_li.kd
    .uniform_work_group_size: 1
    .uses_dynamic_stack: false
    .vgpr_count:     16
    .vgpr_spill_count: 0
    .wavefront_size: 32
  - .args:
      - .offset:         0
        .size:           4
        .value_kind:     by_value
      - .offset:         8
        .size:           8
        .value_kind:     by_value
      - .offset:         16
        .size:           8
        .value_kind:     by_value
      - .address_space:  global
        .offset:         24
        .size:           8
        .value_kind:     global_buffer
      - .offset:         32
        .size:           8
        .value_kind:     by_value
      - .offset:         40
        .size:           4
        .value_kind:     by_value
      - .offset:         48
        .size:           8
        .value_kind:     by_value
      - .offset:         56
        .size:           4
        .value_kind:     by_value
    .group_segment_fixed_size: 0
    .kernarg_segment_align: 8
    .kernarg_segment_size: 60
    .language:       OpenCL C
    .language_version:
      - 2
      - 0
    .max_flat_workgroup_size: 256
    .name:           _ZL19rocblas_scal_kernelIiLi256E19rocblas_complex_numIdES1_dPS1_EviT3_lT4_lT_li
    .private_segment_fixed_size: 0
    .sgpr_count:     18
    .sgpr_spill_count: 0
    .symbol:         _ZL19rocblas_scal_kernelIiLi256E19rocblas_complex_numIdES1_dPS1_EviT3_lT4_lT_li.kd
    .uniform_work_group_size: 1
    .uses_dynamic_stack: false
    .vgpr_count:     12
    .vgpr_spill_count: 0
    .wavefront_size: 32
  - .args:
      - .offset:         0
        .size:           4
        .value_kind:     by_value
      - .address_space:  global
        .offset:         8
        .size:           8
        .value_kind:     global_buffer
      - .offset:         16
        .size:           8
        .value_kind:     by_value
      - .address_space:  global
        .offset:         24
        .size:           8
        .value_kind:     global_buffer
      - .offset:         32
        .size:           8
        .value_kind:     by_value
      - .offset:         40
        .size:           8
        .value_kind:     by_value
      - .offset:         48
        .size:           8
        .value_kind:     by_value
      - .offset:         56
        .size:           4
        .value_kind:     by_value
    .group_segment_fixed_size: 0
    .kernarg_segment_align: 8
    .kernarg_segment_size: 60
    .language:       OpenCL C
    .language_version:
      - 2
      - 0
    .max_flat_workgroup_size: 256
    .name:           _ZL19rocblas_scal_kernelIlLi256E19rocblas_complex_numIdES1_PKdPS1_EviT3_lT4_lT_li
    .private_segment_fixed_size: 0
    .sgpr_count:     22
    .sgpr_spill_count: 0
    .symbol:         _ZL19rocblas_scal_kernelIlLi256E19rocblas_complex_numIdES1_PKdPS1_EviT3_lT4_lT_li.kd
    .uniform_work_group_size: 1
    .uses_dynamic_stack: false
    .vgpr_count:     16
    .vgpr_spill_count: 0
    .wavefront_size: 32
  - .args:
      - .offset:         0
        .size:           4
        .value_kind:     by_value
      - .offset:         8
        .size:           8
        .value_kind:     by_value
      - .offset:         16
        .size:           8
        .value_kind:     by_value
      - .address_space:  global
        .offset:         24
        .size:           8
        .value_kind:     global_buffer
      - .offset:         32
        .size:           8
        .value_kind:     by_value
      - .offset:         40
        .size:           8
        .value_kind:     by_value
      - .offset:         48
        .size:           8
        .value_kind:     by_value
      - .offset:         56
        .size:           4
        .value_kind:     by_value
    .group_segment_fixed_size: 0
    .kernarg_segment_align: 8
    .kernarg_segment_size: 60
    .language:       OpenCL C
    .language_version:
      - 2
      - 0
    .max_flat_workgroup_size: 256
    .name:           _ZL19rocblas_scal_kernelIlLi256E19rocblas_complex_numIdES1_dPS1_EviT3_lT4_lT_li
    .private_segment_fixed_size: 0
    .sgpr_count:     20
    .sgpr_spill_count: 0
    .symbol:         _ZL19rocblas_scal_kernelIlLi256E19rocblas_complex_numIdES1_dPS1_EviT3_lT4_lT_li.kd
    .uniform_work_group_size: 1
    .uses_dynamic_stack: false
    .vgpr_count:     12
    .vgpr_spill_count: 0
    .wavefront_size: 32
  - .args:
      - .offset:         0
        .size:           4
        .value_kind:     by_value
      - .address_space:  global
        .offset:         8
        .size:           8
        .value_kind:     global_buffer
      - .offset:         16
        .size:           8
        .value_kind:     by_value
      - .actual_access:  read_only
        .address_space:  global
        .offset:         24
        .size:           8
        .value_kind:     global_buffer
      - .offset:         32
        .size:           8
        .value_kind:     by_value
      - .offset:         40
        .size:           8
        .value_kind:     by_value
      - .offset:         48
        .size:           4
        .value_kind:     by_value
    .group_segment_fixed_size: 0
    .kernarg_segment_align: 8
    .kernarg_segment_size: 52
    .language:       OpenCL C
    .language_version:
      - 2
      - 0
    .max_flat_workgroup_size: 256
    .name:           _ZL22rocblas_sscal_2_kernelILi256EDF16_DF16_PKDF16_PKPDF16_EviT2_lT3_lli
    .private_segment_fixed_size: 0
    .sgpr_count:     18
    .sgpr_spill_count: 0
    .symbol:         _ZL22rocblas_sscal_2_kernelILi256EDF16_DF16_PKDF16_PKPDF16_EviT2_lT3_lli.kd
    .uniform_work_group_size: 1
    .uses_dynamic_stack: false
    .vgpr_count:     6
    .vgpr_spill_count: 0
    .wavefront_size: 32
  - .args:
      - .offset:         0
        .size:           4
        .value_kind:     by_value
      - .offset:         4
        .size:           2
        .value_kind:     by_value
      - .offset:         8
        .size:           8
        .value_kind:     by_value
      - .actual_access:  read_only
        .address_space:  global
        .offset:         16
        .size:           8
        .value_kind:     global_buffer
      - .offset:         24
        .size:           8
        .value_kind:     by_value
      - .offset:         32
        .size:           8
        .value_kind:     by_value
      - .offset:         40
        .size:           4
        .value_kind:     by_value
    .group_segment_fixed_size: 0
    .kernarg_segment_align: 8
    .kernarg_segment_size: 44
    .language:       OpenCL C
    .language_version:
      - 2
      - 0
    .max_flat_workgroup_size: 256
    .name:           _ZL22rocblas_sscal_2_kernelILi256EDF16_DF16_DF16_PKPDF16_EviT2_lT3_lli
    .private_segment_fixed_size: 0
    .sgpr_count:     16
    .sgpr_spill_count: 0
    .symbol:         _ZL22rocblas_sscal_2_kernelILi256EDF16_DF16_DF16_PKPDF16_EviT2_lT3_lli.kd
    .uniform_work_group_size: 1
    .uses_dynamic_stack: false
    .vgpr_count:     5
    .vgpr_spill_count: 0
    .wavefront_size: 32
  - .args:
      - .offset:         0
        .size:           4
        .value_kind:     by_value
      - .offset:         4
        .size:           4
        .value_kind:     by_value
      - .offset:         8
        .size:           4
        .value_kind:     by_value
      - .address_space:  global
        .offset:         16
        .size:           8
        .value_kind:     global_buffer
      - .offset:         24
        .size:           8
        .value_kind:     by_value
      - .actual_access:  read_only
        .address_space:  global
        .offset:         32
        .size:           8
        .value_kind:     global_buffer
      - .offset:         40
        .size:           8
        .value_kind:     by_value
      - .offset:         48
        .size:           8
        .value_kind:     by_value
      - .offset:         56
        .size:           4
        .value_kind:     by_value
    .group_segment_fixed_size: 0
    .kernarg_segment_align: 8
    .kernarg_segment_size: 60
    .language:       OpenCL C
    .language_version:
      - 2
      - 0
    .max_flat_workgroup_size: 256
    .name:           _ZL26rocblas_hscal_mlt_4_kernelILi256EPKDF16_PKPDF16_EviiiT0_lT1_lli
    .private_segment_fixed_size: 0
    .sgpr_count:     30
    .sgpr_spill_count: 0
    .symbol:         _ZL26rocblas_hscal_mlt_4_kernelILi256EPKDF16_PKPDF16_EviiiT0_lT1_lli.kd
    .uniform_work_group_size: 1
    .uses_dynamic_stack: false
    .vgpr_count:     8
    .vgpr_spill_count: 0
    .wavefront_size: 32
  - .args:
      - .offset:         0
        .size:           4
        .value_kind:     by_value
      - .offset:         4
        .size:           4
        .value_kind:     by_value
      - .offset:         8
        .size:           4
        .value_kind:     by_value
      - .offset:         12
        .size:           2
        .value_kind:     by_value
      - .offset:         16
        .size:           8
        .value_kind:     by_value
      - .actual_access:  read_only
        .address_space:  global
        .offset:         24
        .size:           8
        .value_kind:     global_buffer
      - .offset:         32
        .size:           8
        .value_kind:     by_value
      - .offset:         40
        .size:           8
        .value_kind:     by_value
      - .offset:         48
        .size:           4
        .value_kind:     by_value
    .group_segment_fixed_size: 0
    .kernarg_segment_align: 8
    .kernarg_segment_size: 52
    .language:       OpenCL C
    .language_version:
      - 2
      - 0
    .max_flat_workgroup_size: 256
    .name:           _ZL26rocblas_hscal_mlt_4_kernelILi256EDF16_PKPDF16_EviiiT0_lT1_lli
    .private_segment_fixed_size: 0
    .sgpr_count:     30
    .sgpr_spill_count: 0
    .symbol:         _ZL26rocblas_hscal_mlt_4_kernelILi256EDF16_PKPDF16_EviiiT0_lT1_lli.kd
    .uniform_work_group_size: 1
    .uses_dynamic_stack: false
    .vgpr_count:     6
    .vgpr_spill_count: 0
    .wavefront_size: 32
  - .args:
      - .offset:         0
        .size:           4
        .value_kind:     by_value
      - .address_space:  global
        .offset:         8
        .size:           8
        .value_kind:     global_buffer
      - .offset:         16
        .size:           8
        .value_kind:     by_value
      - .address_space:  global
        .offset:         24
        .size:           8
        .value_kind:     global_buffer
      - .offset:         32
        .size:           8
        .value_kind:     by_value
      - .offset:         40
        .size:           4
        .value_kind:     by_value
      - .offset:         48
        .size:           8
        .value_kind:     by_value
      - .offset:         56
        .size:           4
        .value_kind:     by_value
    .group_segment_fixed_size: 0
    .kernarg_segment_align: 8
    .kernarg_segment_size: 60
    .language:       OpenCL C
    .language_version:
      - 2
      - 0
    .max_flat_workgroup_size: 256
    .name:           _ZL19rocblas_scal_kernelIiLi256EDF16_DF16_PKDF16_PKPDF16_EviT3_lT4_lT_li
    .private_segment_fixed_size: 0
    .sgpr_count:     18
    .sgpr_spill_count: 0
    .symbol:         _ZL19rocblas_scal_kernelIiLi256EDF16_DF16_PKDF16_PKPDF16_EviT3_lT4_lT_li.kd
    .uniform_work_group_size: 1
    .uses_dynamic_stack: false
    .vgpr_count:     7
    .vgpr_spill_count: 0
    .wavefront_size: 32
  - .args:
      - .offset:         0
        .size:           4
        .value_kind:     by_value
      - .offset:         4
        .size:           2
        .value_kind:     by_value
      - .offset:         8
        .size:           8
        .value_kind:     by_value
      - .address_space:  global
        .offset:         16
        .size:           8
        .value_kind:     global_buffer
      - .offset:         24
        .size:           8
        .value_kind:     by_value
      - .offset:         32
        .size:           4
        .value_kind:     by_value
      - .offset:         40
        .size:           8
        .value_kind:     by_value
      - .offset:         48
        .size:           4
        .value_kind:     by_value
    .group_segment_fixed_size: 0
    .kernarg_segment_align: 8
    .kernarg_segment_size: 52
    .language:       OpenCL C
    .language_version:
      - 2
      - 0
    .max_flat_workgroup_size: 256
    .name:           _ZL19rocblas_scal_kernelIiLi256EDF16_DF16_DF16_PKPDF16_EviT3_lT4_lT_li
    .private_segment_fixed_size: 0
    .sgpr_count:     14
    .sgpr_spill_count: 0
    .symbol:         _ZL19rocblas_scal_kernelIiLi256EDF16_DF16_DF16_PKPDF16_EviT3_lT4_lT_li.kd
    .uniform_work_group_size: 1
    .uses_dynamic_stack: false
    .vgpr_count:     5
    .vgpr_spill_count: 0
    .wavefront_size: 32
  - .args:
      - .offset:         0
        .size:           4
        .value_kind:     by_value
      - .address_space:  global
        .offset:         8
        .size:           8
        .value_kind:     global_buffer
      - .offset:         16
        .size:           8
        .value_kind:     by_value
      - .address_space:  global
        .offset:         24
        .size:           8
        .value_kind:     global_buffer
      - .offset:         32
        .size:           8
        .value_kind:     by_value
      - .offset:         40
        .size:           8
        .value_kind:     by_value
      - .offset:         48
        .size:           8
        .value_kind:     by_value
      - .offset:         56
        .size:           4
        .value_kind:     by_value
    .group_segment_fixed_size: 0
    .kernarg_segment_align: 8
    .kernarg_segment_size: 60
    .language:       OpenCL C
    .language_version:
      - 2
      - 0
    .max_flat_workgroup_size: 256
    .name:           _ZL19rocblas_scal_kernelIlLi256EDF16_DF16_PKDF16_PKPDF16_EviT3_lT4_lT_li
    .private_segment_fixed_size: 0
    .sgpr_count:     18
    .sgpr_spill_count: 0
    .symbol:         _ZL19rocblas_scal_kernelIlLi256EDF16_DF16_PKDF16_PKPDF16_EviT3_lT4_lT_li.kd
    .uniform_work_group_size: 1
    .uses_dynamic_stack: false
    .vgpr_count:     7
    .vgpr_spill_count: 0
    .wavefront_size: 32
  - .args:
      - .offset:         0
        .size:           4
        .value_kind:     by_value
      - .offset:         4
        .size:           2
        .value_kind:     by_value
      - .offset:         8
        .size:           8
        .value_kind:     by_value
      - .address_space:  global
        .offset:         16
        .size:           8
        .value_kind:     global_buffer
      - .offset:         24
        .size:           8
        .value_kind:     by_value
      - .offset:         32
        .size:           8
        .value_kind:     by_value
      - .offset:         40
        .size:           8
        .value_kind:     by_value
      - .offset:         48
        .size:           4
        .value_kind:     by_value
    .group_segment_fixed_size: 0
    .kernarg_segment_align: 8
    .kernarg_segment_size: 52
    .language:       OpenCL C
    .language_version:
      - 2
      - 0
    .max_flat_workgroup_size: 256
    .name:           _ZL19rocblas_scal_kernelIlLi256EDF16_DF16_DF16_PKPDF16_EviT3_lT4_lT_li
    .private_segment_fixed_size: 0
    .sgpr_count:     14
    .sgpr_spill_count: 0
    .symbol:         _ZL19rocblas_scal_kernelIlLi256EDF16_DF16_DF16_PKPDF16_EviT3_lT4_lT_li.kd
    .uniform_work_group_size: 1
    .uses_dynamic_stack: false
    .vgpr_count:     5
    .vgpr_spill_count: 0
    .wavefront_size: 32
  - .args:
      - .offset:         0
        .size:           4
        .value_kind:     by_value
      - .address_space:  global
        .offset:         8
        .size:           8
        .value_kind:     global_buffer
      - .offset:         16
        .size:           8
        .value_kind:     by_value
      - .actual_access:  read_only
        .address_space:  global
        .offset:         24
        .size:           8
        .value_kind:     global_buffer
      - .offset:         32
        .size:           8
        .value_kind:     by_value
      - .offset:         40
        .size:           8
        .value_kind:     by_value
      - .offset:         48
        .size:           4
        .value_kind:     by_value
    .group_segment_fixed_size: 0
    .kernarg_segment_align: 8
    .kernarg_segment_size: 52
    .language:       OpenCL C
    .language_version:
      - 2
      - 0
    .max_flat_workgroup_size: 256
    .name:           _ZL22rocblas_sscal_2_kernelILi256EDF16_DF16_PKfPKPDF16_EviT2_lT3_lli
    .private_segment_fixed_size: 0
    .sgpr_count:     18
    .sgpr_spill_count: 0
    .symbol:         _ZL22rocblas_sscal_2_kernelILi256EDF16_DF16_PKfPKPDF16_EviT2_lT3_lli.kd
    .uniform_work_group_size: 1
    .uses_dynamic_stack: false
    .vgpr_count:     6
    .vgpr_spill_count: 0
    .wavefront_size: 32
  - .args:
      - .offset:         0
        .size:           4
        .value_kind:     by_value
      - .offset:         4
        .size:           4
        .value_kind:     by_value
      - .offset:         8
        .size:           8
        .value_kind:     by_value
      - .actual_access:  read_only
        .address_space:  global
        .offset:         16
        .size:           8
        .value_kind:     global_buffer
      - .offset:         24
        .size:           8
        .value_kind:     by_value
      - .offset:         32
        .size:           8
        .value_kind:     by_value
      - .offset:         40
        .size:           4
        .value_kind:     by_value
    .group_segment_fixed_size: 0
    .kernarg_segment_align: 8
    .kernarg_segment_size: 44
    .language:       OpenCL C
    .language_version:
      - 2
      - 0
    .max_flat_workgroup_size: 256
    .name:           _ZL22rocblas_sscal_2_kernelILi256EDF16_DF16_fPKPDF16_EviT2_lT3_lli
    .private_segment_fixed_size: 0
    .sgpr_count:     16
    .sgpr_spill_count: 0
    .symbol:         _ZL22rocblas_sscal_2_kernelILi256EDF16_DF16_fPKPDF16_EviT2_lT3_lli.kd
    .uniform_work_group_size: 1
    .uses_dynamic_stack: false
    .vgpr_count:     8
    .vgpr_spill_count: 0
    .wavefront_size: 32
  - .args:
      - .offset:         0
        .size:           4
        .value_kind:     by_value
      - .address_space:  global
        .offset:         8
        .size:           8
        .value_kind:     global_buffer
      - .offset:         16
        .size:           8
        .value_kind:     by_value
      - .address_space:  global
        .offset:         24
        .size:           8
        .value_kind:     global_buffer
      - .offset:         32
        .size:           8
        .value_kind:     by_value
      - .offset:         40
        .size:           4
        .value_kind:     by_value
      - .offset:         48
        .size:           8
        .value_kind:     by_value
      - .offset:         56
        .size:           4
        .value_kind:     by_value
    .group_segment_fixed_size: 0
    .kernarg_segment_align: 8
    .kernarg_segment_size: 60
    .language:       OpenCL C
    .language_version:
      - 2
      - 0
    .max_flat_workgroup_size: 256
    .name:           _ZL19rocblas_scal_kernelIiLi256EDF16_DF16_PKfPKPDF16_EviT3_lT4_lT_li
    .private_segment_fixed_size: 0
    .sgpr_count:     18
    .sgpr_spill_count: 0
    .symbol:         _ZL19rocblas_scal_kernelIiLi256EDF16_DF16_PKfPKPDF16_EviT3_lT4_lT_li.kd
    .uniform_work_group_size: 1
    .uses_dynamic_stack: false
    .vgpr_count:     5
    .vgpr_spill_count: 0
    .wavefront_size: 32
  - .args:
      - .offset:         0
        .size:           4
        .value_kind:     by_value
      - .offset:         4
        .size:           4
        .value_kind:     by_value
      - .offset:         8
        .size:           8
        .value_kind:     by_value
      - .address_space:  global
        .offset:         16
        .size:           8
        .value_kind:     global_buffer
      - .offset:         24
        .size:           8
        .value_kind:     by_value
      - .offset:         32
        .size:           4
        .value_kind:     by_value
      - .offset:         40
        .size:           8
        .value_kind:     by_value
      - .offset:         48
        .size:           4
        .value_kind:     by_value
    .group_segment_fixed_size: 0
    .kernarg_segment_align: 8
    .kernarg_segment_size: 52
    .language:       OpenCL C
    .language_version:
      - 2
      - 0
    .max_flat_workgroup_size: 256
    .name:           _ZL19rocblas_scal_kernelIiLi256EDF16_DF16_fPKPDF16_EviT3_lT4_lT_li
    .private_segment_fixed_size: 0
    .sgpr_count:     14
    .sgpr_spill_count: 0
    .symbol:         _ZL19rocblas_scal_kernelIiLi256EDF16_DF16_fPKPDF16_EviT3_lT4_lT_li.kd
    .uniform_work_group_size: 1
    .uses_dynamic_stack: false
    .vgpr_count:     5
    .vgpr_spill_count: 0
    .wavefront_size: 32
  - .args:
      - .offset:         0
        .size:           4
        .value_kind:     by_value
      - .address_space:  global
        .offset:         8
        .size:           8
        .value_kind:     global_buffer
      - .offset:         16
        .size:           8
        .value_kind:     by_value
      - .address_space:  global
        .offset:         24
        .size:           8
        .value_kind:     global_buffer
      - .offset:         32
        .size:           8
        .value_kind:     by_value
      - .offset:         40
        .size:           8
        .value_kind:     by_value
      - .offset:         48
        .size:           8
        .value_kind:     by_value
      - .offset:         56
        .size:           4
        .value_kind:     by_value
    .group_segment_fixed_size: 0
    .kernarg_segment_align: 8
    .kernarg_segment_size: 60
    .language:       OpenCL C
    .language_version:
      - 2
      - 0
    .max_flat_workgroup_size: 256
    .name:           _ZL19rocblas_scal_kernelIlLi256EDF16_DF16_PKfPKPDF16_EviT3_lT4_lT_li
    .private_segment_fixed_size: 0
    .sgpr_count:     18
    .sgpr_spill_count: 0
    .symbol:         _ZL19rocblas_scal_kernelIlLi256EDF16_DF16_PKfPKPDF16_EviT3_lT4_lT_li.kd
    .uniform_work_group_size: 1
    .uses_dynamic_stack: false
    .vgpr_count:     5
    .vgpr_spill_count: 0
    .wavefront_size: 32
  - .args:
      - .offset:         0
        .size:           4
        .value_kind:     by_value
      - .offset:         4
        .size:           4
        .value_kind:     by_value
      - .offset:         8
        .size:           8
        .value_kind:     by_value
      - .address_space:  global
        .offset:         16
        .size:           8
        .value_kind:     global_buffer
      - .offset:         24
        .size:           8
        .value_kind:     by_value
      - .offset:         32
        .size:           8
        .value_kind:     by_value
      - .offset:         40
        .size:           8
        .value_kind:     by_value
      - .offset:         48
        .size:           4
        .value_kind:     by_value
    .group_segment_fixed_size: 0
    .kernarg_segment_align: 8
    .kernarg_segment_size: 52
    .language:       OpenCL C
    .language_version:
      - 2
      - 0
    .max_flat_workgroup_size: 256
    .name:           _ZL19rocblas_scal_kernelIlLi256EDF16_DF16_fPKPDF16_EviT3_lT4_lT_li
    .private_segment_fixed_size: 0
    .sgpr_count:     14
    .sgpr_spill_count: 0
    .symbol:         _ZL19rocblas_scal_kernelIlLi256EDF16_DF16_fPKPDF16_EviT3_lT4_lT_li.kd
    .uniform_work_group_size: 1
    .uses_dynamic_stack: false
    .vgpr_count:     5
    .vgpr_spill_count: 0
    .wavefront_size: 32
  - .args:
      - .offset:         0
        .size:           4
        .value_kind:     by_value
      - .address_space:  global
        .offset:         8
        .size:           8
        .value_kind:     global_buffer
      - .offset:         16
        .size:           8
        .value_kind:     by_value
      - .actual_access:  read_only
        .address_space:  global
        .offset:         24
        .size:           8
        .value_kind:     global_buffer
      - .offset:         32
        .size:           8
        .value_kind:     by_value
      - .offset:         40
        .size:           8
        .value_kind:     by_value
      - .offset:         48
        .size:           4
        .value_kind:     by_value
    .group_segment_fixed_size: 0
    .kernarg_segment_align: 8
    .kernarg_segment_size: 52
    .language:       OpenCL C
    .language_version:
      - 2
      - 0
    .max_flat_workgroup_size: 256
    .name:           _ZL22rocblas_sscal_2_kernelILi256EffPKfPKPfEviT2_lT3_lli
    .private_segment_fixed_size: 0
    .sgpr_count:     18
    .sgpr_spill_count: 0
    .symbol:         _ZL22rocblas_sscal_2_kernelILi256EffPKfPKPfEviT2_lT3_lli.kd
    .uniform_work_group_size: 1
    .uses_dynamic_stack: false
    .vgpr_count:     8
    .vgpr_spill_count: 0
    .wavefront_size: 32
  - .args:
      - .offset:         0
        .size:           4
        .value_kind:     by_value
      - .offset:         4
        .size:           4
        .value_kind:     by_value
      - .offset:         8
        .size:           8
        .value_kind:     by_value
      - .actual_access:  read_only
        .address_space:  global
        .offset:         16
        .size:           8
        .value_kind:     global_buffer
      - .offset:         24
        .size:           8
        .value_kind:     by_value
      - .offset:         32
        .size:           8
        .value_kind:     by_value
      - .offset:         40
        .size:           4
        .value_kind:     by_value
    .group_segment_fixed_size: 0
    .kernarg_segment_align: 8
    .kernarg_segment_size: 44
    .language:       OpenCL C
    .language_version:
      - 2
      - 0
    .max_flat_workgroup_size: 256
    .name:           _ZL22rocblas_sscal_2_kernelILi256EfffPKPfEviT2_lT3_lli
    .private_segment_fixed_size: 0
    .sgpr_count:     16
    .sgpr_spill_count: 0
    .symbol:         _ZL22rocblas_sscal_2_kernelILi256EfffPKPfEviT2_lT3_lli.kd
    .uniform_work_group_size: 1
    .uses_dynamic_stack: false
    .vgpr_count:     8
    .vgpr_spill_count: 0
    .wavefront_size: 32
  - .args:
      - .offset:         0
        .size:           4
        .value_kind:     by_value
      - .address_space:  global
        .offset:         8
        .size:           8
        .value_kind:     global_buffer
      - .offset:         16
        .size:           8
        .value_kind:     by_value
      - .address_space:  global
        .offset:         24
        .size:           8
        .value_kind:     global_buffer
      - .offset:         32
        .size:           8
        .value_kind:     by_value
      - .offset:         40
        .size:           4
        .value_kind:     by_value
      - .offset:         48
        .size:           8
        .value_kind:     by_value
      - .offset:         56
        .size:           4
        .value_kind:     by_value
    .group_segment_fixed_size: 0
    .kernarg_segment_align: 8
    .kernarg_segment_size: 60
    .language:       OpenCL C
    .language_version:
      - 2
      - 0
    .max_flat_workgroup_size: 256
    .name:           _ZL19rocblas_scal_kernelIiLi256EffPKfPKPfEviT3_lT4_lT_li
    .private_segment_fixed_size: 0
    .sgpr_count:     18
    .sgpr_spill_count: 0
    .symbol:         _ZL19rocblas_scal_kernelIiLi256EffPKfPKPfEviT3_lT4_lT_li.kd
    .uniform_work_group_size: 1
    .uses_dynamic_stack: false
    .vgpr_count:     7
    .vgpr_spill_count: 0
    .wavefront_size: 32
  - .args:
      - .offset:         0
        .size:           4
        .value_kind:     by_value
      - .offset:         4
        .size:           4
        .value_kind:     by_value
      - .offset:         8
        .size:           8
        .value_kind:     by_value
      - .address_space:  global
        .offset:         16
        .size:           8
        .value_kind:     global_buffer
      - .offset:         24
        .size:           8
        .value_kind:     by_value
      - .offset:         32
        .size:           4
        .value_kind:     by_value
      - .offset:         40
        .size:           8
        .value_kind:     by_value
      - .offset:         48
        .size:           4
        .value_kind:     by_value
    .group_segment_fixed_size: 0
    .kernarg_segment_align: 8
    .kernarg_segment_size: 52
    .language:       OpenCL C
    .language_version:
      - 2
      - 0
    .max_flat_workgroup_size: 256
    .name:           _ZL19rocblas_scal_kernelIiLi256EfffPKPfEviT3_lT4_lT_li
    .private_segment_fixed_size: 0
    .sgpr_count:     14
    .sgpr_spill_count: 0
    .symbol:         _ZL19rocblas_scal_kernelIiLi256EfffPKPfEviT3_lT4_lT_li.kd
    .uniform_work_group_size: 1
    .uses_dynamic_stack: false
    .vgpr_count:     5
    .vgpr_spill_count: 0
    .wavefront_size: 32
  - .args:
      - .offset:         0
        .size:           4
        .value_kind:     by_value
      - .address_space:  global
        .offset:         8
        .size:           8
        .value_kind:     global_buffer
      - .offset:         16
        .size:           8
        .value_kind:     by_value
      - .address_space:  global
        .offset:         24
        .size:           8
        .value_kind:     global_buffer
      - .offset:         32
        .size:           8
        .value_kind:     by_value
      - .offset:         40
        .size:           8
        .value_kind:     by_value
      - .offset:         48
        .size:           8
        .value_kind:     by_value
      - .offset:         56
        .size:           4
        .value_kind:     by_value
    .group_segment_fixed_size: 0
    .kernarg_segment_align: 8
    .kernarg_segment_size: 60
    .language:       OpenCL C
    .language_version:
      - 2
      - 0
    .max_flat_workgroup_size: 256
    .name:           _ZL19rocblas_scal_kernelIlLi256EffPKfPKPfEviT3_lT4_lT_li
    .private_segment_fixed_size: 0
    .sgpr_count:     18
    .sgpr_spill_count: 0
    .symbol:         _ZL19rocblas_scal_kernelIlLi256EffPKfPKPfEviT3_lT4_lT_li.kd
    .uniform_work_group_size: 1
    .uses_dynamic_stack: false
    .vgpr_count:     7
    .vgpr_spill_count: 0
    .wavefront_size: 32
  - .args:
      - .offset:         0
        .size:           4
        .value_kind:     by_value
      - .offset:         4
        .size:           4
        .value_kind:     by_value
      - .offset:         8
        .size:           8
        .value_kind:     by_value
      - .address_space:  global
        .offset:         16
        .size:           8
        .value_kind:     global_buffer
      - .offset:         24
        .size:           8
        .value_kind:     by_value
      - .offset:         32
        .size:           8
        .value_kind:     by_value
      - .offset:         40
        .size:           8
        .value_kind:     by_value
      - .offset:         48
        .size:           4
        .value_kind:     by_value
    .group_segment_fixed_size: 0
    .kernarg_segment_align: 8
    .kernarg_segment_size: 52
    .language:       OpenCL C
    .language_version:
      - 2
      - 0
    .max_flat_workgroup_size: 256
    .name:           _ZL19rocblas_scal_kernelIlLi256EfffPKPfEviT3_lT4_lT_li
    .private_segment_fixed_size: 0
    .sgpr_count:     14
    .sgpr_spill_count: 0
    .symbol:         _ZL19rocblas_scal_kernelIlLi256EfffPKPfEviT3_lT4_lT_li.kd
    .uniform_work_group_size: 1
    .uses_dynamic_stack: false
    .vgpr_count:     5
    .vgpr_spill_count: 0
    .wavefront_size: 32
  - .args:
      - .offset:         0
        .size:           4
        .value_kind:     by_value
      - .address_space:  global
        .offset:         8
        .size:           8
        .value_kind:     global_buffer
      - .offset:         16
        .size:           8
        .value_kind:     by_value
      - .actual_access:  read_only
        .address_space:  global
        .offset:         24
        .size:           8
        .value_kind:     global_buffer
      - .offset:         32
        .size:           8
        .value_kind:     by_value
      - .offset:         40
        .size:           8
        .value_kind:     by_value
      - .offset:         48
        .size:           4
        .value_kind:     by_value
    .group_segment_fixed_size: 0
    .kernarg_segment_align: 8
    .kernarg_segment_size: 52
    .language:       OpenCL C
    .language_version:
      - 2
      - 0
    .max_flat_workgroup_size: 256
    .name:           _ZL22rocblas_sscal_2_kernelILi256E19rocblas_complex_numIdES1_PKS1_PKPS1_EviT2_lT3_lli
    .private_segment_fixed_size: 0
    .sgpr_count:     18
    .sgpr_spill_count: 0
    .symbol:         _ZL22rocblas_sscal_2_kernelILi256E19rocblas_complex_numIdES1_PKS1_PKPS1_EviT2_lT3_lli.kd
    .uniform_work_group_size: 1
    .uses_dynamic_stack: false
    .vgpr_count:     22
    .vgpr_spill_count: 0
    .wavefront_size: 32
  - .args:
      - .offset:         0
        .size:           4
        .value_kind:     by_value
      - .offset:         8
        .size:           16
        .value_kind:     by_value
      - .offset:         24
        .size:           8
        .value_kind:     by_value
      - .actual_access:  read_only
        .address_space:  global
        .offset:         32
        .size:           8
        .value_kind:     global_buffer
      - .offset:         40
        .size:           8
        .value_kind:     by_value
      - .offset:         48
        .size:           8
        .value_kind:     by_value
      - .offset:         56
        .size:           4
        .value_kind:     by_value
    .group_segment_fixed_size: 0
    .kernarg_segment_align: 8
    .kernarg_segment_size: 60
    .language:       OpenCL C
    .language_version:
      - 2
      - 0
    .max_flat_workgroup_size: 256
    .name:           _ZL22rocblas_sscal_2_kernelILi256E19rocblas_complex_numIdES1_S1_PKPS1_EviT2_lT3_lli
    .private_segment_fixed_size: 0
    .sgpr_count:     19
    .sgpr_spill_count: 0
    .symbol:         _ZL22rocblas_sscal_2_kernelILi256E19rocblas_complex_numIdES1_S1_PKPS1_EviT2_lT3_lli.kd
    .uniform_work_group_size: 1
    .uses_dynamic_stack: false
    .vgpr_count:     18
    .vgpr_spill_count: 0
    .wavefront_size: 32
  - .args:
      - .offset:         0
        .size:           4
        .value_kind:     by_value
      - .address_space:  global
        .offset:         8
        .size:           8
        .value_kind:     global_buffer
      - .offset:         16
        .size:           8
        .value_kind:     by_value
      - .address_space:  global
        .offset:         24
        .size:           8
        .value_kind:     global_buffer
      - .offset:         32
        .size:           8
        .value_kind:     by_value
      - .offset:         40
        .size:           4
        .value_kind:     by_value
      - .offset:         48
        .size:           8
        .value_kind:     by_value
      - .offset:         56
        .size:           4
        .value_kind:     by_value
    .group_segment_fixed_size: 0
    .kernarg_segment_align: 8
    .kernarg_segment_size: 60
    .language:       OpenCL C
    .language_version:
      - 2
      - 0
    .max_flat_workgroup_size: 256
    .name:           _ZL19rocblas_scal_kernelIiLi256E19rocblas_complex_numIdES1_PKS1_PKPS1_EviT3_lT4_lT_li
    .private_segment_fixed_size: 0
    .sgpr_count:     18
    .sgpr_spill_count: 0
    .symbol:         _ZL19rocblas_scal_kernelIiLi256E19rocblas_complex_numIdES1_PKS1_PKPS1_EviT3_lT4_lT_li.kd
    .uniform_work_group_size: 1
    .uses_dynamic_stack: false
    .vgpr_count:     18
    .vgpr_spill_count: 0
    .wavefront_size: 32
  - .args:
      - .offset:         0
        .size:           4
        .value_kind:     by_value
      - .offset:         8
        .size:           16
        .value_kind:     by_value
      - .offset:         24
        .size:           8
        .value_kind:     by_value
      - .address_space:  global
        .offset:         32
        .size:           8
        .value_kind:     global_buffer
      - .offset:         40
        .size:           8
        .value_kind:     by_value
      - .offset:         48
        .size:           4
        .value_kind:     by_value
      - .offset:         56
        .size:           8
        .value_kind:     by_value
      - .offset:         64
        .size:           4
        .value_kind:     by_value
    .group_segment_fixed_size: 0
    .kernarg_segment_align: 8
    .kernarg_segment_size: 68
    .language:       OpenCL C
    .language_version:
      - 2
      - 0
    .max_flat_workgroup_size: 256
    .name:           _ZL19rocblas_scal_kernelIiLi256E19rocblas_complex_numIdES1_S1_PKPS1_EviT3_lT4_lT_li
    .private_segment_fixed_size: 0
    .sgpr_count:     18
    .sgpr_spill_count: 0
    .symbol:         _ZL19rocblas_scal_kernelIiLi256E19rocblas_complex_numIdES1_S1_PKPS1_EviT3_lT4_lT_li.kd
    .uniform_work_group_size: 1
    .uses_dynamic_stack: false
    .vgpr_count:     12
    .vgpr_spill_count: 0
    .wavefront_size: 32
  - .args:
      - .offset:         0
        .size:           4
        .value_kind:     by_value
      - .address_space:  global
        .offset:         8
        .size:           8
        .value_kind:     global_buffer
      - .offset:         16
        .size:           8
        .value_kind:     by_value
      - .address_space:  global
        .offset:         24
        .size:           8
        .value_kind:     global_buffer
      - .offset:         32
        .size:           8
        .value_kind:     by_value
      - .offset:         40
        .size:           8
        .value_kind:     by_value
      - .offset:         48
        .size:           8
        .value_kind:     by_value
      - .offset:         56
        .size:           4
        .value_kind:     by_value
    .group_segment_fixed_size: 0
    .kernarg_segment_align: 8
    .kernarg_segment_size: 60
    .language:       OpenCL C
    .language_version:
      - 2
      - 0
    .max_flat_workgroup_size: 256
    .name:           _ZL19rocblas_scal_kernelIlLi256E19rocblas_complex_numIdES1_PKS1_PKPS1_EviT3_lT4_lT_li
    .private_segment_fixed_size: 0
    .sgpr_count:     18
    .sgpr_spill_count: 0
    .symbol:         _ZL19rocblas_scal_kernelIlLi256E19rocblas_complex_numIdES1_PKS1_PKPS1_EviT3_lT4_lT_li.kd
    .uniform_work_group_size: 1
    .uses_dynamic_stack: false
    .vgpr_count:     18
    .vgpr_spill_count: 0
    .wavefront_size: 32
  - .args:
      - .offset:         0
        .size:           4
        .value_kind:     by_value
      - .offset:         8
        .size:           16
        .value_kind:     by_value
      - .offset:         24
        .size:           8
        .value_kind:     by_value
      - .address_space:  global
        .offset:         32
        .size:           8
        .value_kind:     global_buffer
      - .offset:         40
        .size:           8
        .value_kind:     by_value
      - .offset:         48
        .size:           8
        .value_kind:     by_value
      - .offset:         56
        .size:           8
        .value_kind:     by_value
      - .offset:         64
        .size:           4
        .value_kind:     by_value
    .group_segment_fixed_size: 0
    .kernarg_segment_align: 8
    .kernarg_segment_size: 68
    .language:       OpenCL C
    .language_version:
      - 2
      - 0
    .max_flat_workgroup_size: 256
    .name:           _ZL19rocblas_scal_kernelIlLi256E19rocblas_complex_numIdES1_S1_PKPS1_EviT3_lT4_lT_li
    .private_segment_fixed_size: 0
    .sgpr_count:     18
    .sgpr_spill_count: 0
    .symbol:         _ZL19rocblas_scal_kernelIlLi256E19rocblas_complex_numIdES1_S1_PKPS1_EviT3_lT4_lT_li.kd
    .uniform_work_group_size: 1
    .uses_dynamic_stack: false
    .vgpr_count:     12
    .vgpr_spill_count: 0
    .wavefront_size: 32
  - .args:
      - .offset:         0
        .size:           4
        .value_kind:     by_value
      - .address_space:  global
        .offset:         8
        .size:           8
        .value_kind:     global_buffer
      - .offset:         16
        .size:           8
        .value_kind:     by_value
      - .actual_access:  read_only
        .address_space:  global
        .offset:         24
        .size:           8
        .value_kind:     global_buffer
      - .offset:         32
        .size:           8
        .value_kind:     by_value
      - .offset:         40
        .size:           8
        .value_kind:     by_value
      - .offset:         48
        .size:           4
        .value_kind:     by_value
    .group_segment_fixed_size: 0
    .kernarg_segment_align: 8
    .kernarg_segment_size: 52
    .language:       OpenCL C
    .language_version:
      - 2
      - 0
    .max_flat_workgroup_size: 256
    .name:           _ZL22rocblas_sscal_2_kernelILi256E19rocblas_complex_numIfES1_PKfPKPS1_EviT2_lT3_lli
    .private_segment_fixed_size: 0
    .sgpr_count:     18
    .sgpr_spill_count: 0
    .symbol:         _ZL22rocblas_sscal_2_kernelILi256E19rocblas_complex_numIfES1_PKfPKPS1_EviT2_lT3_lli.kd
    .uniform_work_group_size: 1
    .uses_dynamic_stack: false
    .vgpr_count:     18
    .vgpr_spill_count: 0
    .wavefront_size: 32
  - .args:
      - .offset:         0
        .size:           4
        .value_kind:     by_value
      - .offset:         4
        .size:           4
        .value_kind:     by_value
      - .offset:         8
        .size:           8
        .value_kind:     by_value
      - .actual_access:  read_only
        .address_space:  global
        .offset:         16
        .size:           8
        .value_kind:     global_buffer
      - .offset:         24
        .size:           8
        .value_kind:     by_value
      - .offset:         32
        .size:           8
        .value_kind:     by_value
      - .offset:         40
        .size:           4
        .value_kind:     by_value
    .group_segment_fixed_size: 0
    .kernarg_segment_align: 8
    .kernarg_segment_size: 44
    .language:       OpenCL C
    .language_version:
      - 2
      - 0
    .max_flat_workgroup_size: 256
    .name:           _ZL22rocblas_sscal_2_kernelILi256E19rocblas_complex_numIfES1_fPKPS1_EviT2_lT3_lli
    .private_segment_fixed_size: 0
    .sgpr_count:     16
    .sgpr_spill_count: 0
    .symbol:         _ZL22rocblas_sscal_2_kernelILi256E19rocblas_complex_numIfES1_fPKPS1_EviT2_lT3_lli.kd
    .uniform_work_group_size: 1
    .uses_dynamic_stack: false
    .vgpr_count:     18
    .vgpr_spill_count: 0
    .wavefront_size: 32
  - .args:
      - .offset:         0
        .size:           4
        .value_kind:     by_value
      - .address_space:  global
        .offset:         8
        .size:           8
        .value_kind:     global_buffer
      - .offset:         16
        .size:           8
        .value_kind:     by_value
      - .address_space:  global
        .offset:         24
        .size:           8
        .value_kind:     global_buffer
      - .offset:         32
        .size:           8
        .value_kind:     by_value
      - .offset:         40
        .size:           4
        .value_kind:     by_value
      - .offset:         48
        .size:           8
        .value_kind:     by_value
      - .offset:         56
        .size:           4
        .value_kind:     by_value
    .group_segment_fixed_size: 0
    .kernarg_segment_align: 8
    .kernarg_segment_size: 60
    .language:       OpenCL C
    .language_version:
      - 2
      - 0
    .max_flat_workgroup_size: 256
    .name:           _ZL19rocblas_scal_kernelIiLi256E19rocblas_complex_numIfES1_PKfPKPS1_EviT3_lT4_lT_li
    .private_segment_fixed_size: 0
    .sgpr_count:     18
    .sgpr_spill_count: 0
    .symbol:         _ZL19rocblas_scal_kernelIiLi256E19rocblas_complex_numIfES1_PKfPKPS1_EviT3_lT4_lT_li.kd
    .uniform_work_group_size: 1
    .uses_dynamic_stack: false
    .vgpr_count:     12
    .vgpr_spill_count: 0
    .wavefront_size: 32
  - .args:
      - .offset:         0
        .size:           4
        .value_kind:     by_value
      - .offset:         4
        .size:           4
        .value_kind:     by_value
      - .offset:         8
        .size:           8
        .value_kind:     by_value
      - .address_space:  global
        .offset:         16
        .size:           8
        .value_kind:     global_buffer
      - .offset:         24
        .size:           8
        .value_kind:     by_value
      - .offset:         32
        .size:           4
        .value_kind:     by_value
      - .offset:         40
        .size:           8
        .value_kind:     by_value
      - .offset:         48
        .size:           4
        .value_kind:     by_value
    .group_segment_fixed_size: 0
    .kernarg_segment_align: 8
    .kernarg_segment_size: 52
    .language:       OpenCL C
    .language_version:
      - 2
      - 0
    .max_flat_workgroup_size: 256
    .name:           _ZL19rocblas_scal_kernelIiLi256E19rocblas_complex_numIfES1_fPKPS1_EviT3_lT4_lT_li
    .private_segment_fixed_size: 0
    .sgpr_count:     16
    .sgpr_spill_count: 0
    .symbol:         _ZL19rocblas_scal_kernelIiLi256E19rocblas_complex_numIfES1_fPKPS1_EviT3_lT4_lT_li.kd
    .uniform_work_group_size: 1
    .uses_dynamic_stack: false
    .vgpr_count:     12
    .vgpr_spill_count: 0
    .wavefront_size: 32
  - .args:
      - .offset:         0
        .size:           4
        .value_kind:     by_value
      - .address_space:  global
        .offset:         8
        .size:           8
        .value_kind:     global_buffer
      - .offset:         16
        .size:           8
        .value_kind:     by_value
      - .address_space:  global
        .offset:         24
        .size:           8
        .value_kind:     global_buffer
      - .offset:         32
        .size:           8
        .value_kind:     by_value
      - .offset:         40
        .size:           8
        .value_kind:     by_value
      - .offset:         48
        .size:           8
        .value_kind:     by_value
      - .offset:         56
        .size:           4
        .value_kind:     by_value
    .group_segment_fixed_size: 0
    .kernarg_segment_align: 8
    .kernarg_segment_size: 60
    .language:       OpenCL C
    .language_version:
      - 2
      - 0
    .max_flat_workgroup_size: 256
    .name:           _ZL19rocblas_scal_kernelIlLi256E19rocblas_complex_numIfES1_PKfPKPS1_EviT3_lT4_lT_li
    .private_segment_fixed_size: 0
    .sgpr_count:     18
    .sgpr_spill_count: 0
    .symbol:         _ZL19rocblas_scal_kernelIlLi256E19rocblas_complex_numIfES1_PKfPKPS1_EviT3_lT4_lT_li.kd
    .uniform_work_group_size: 1
    .uses_dynamic_stack: false
    .vgpr_count:     12
    .vgpr_spill_count: 0
    .wavefront_size: 32
  - .args:
      - .offset:         0
        .size:           4
        .value_kind:     by_value
      - .offset:         4
        .size:           4
        .value_kind:     by_value
      - .offset:         8
        .size:           8
        .value_kind:     by_value
      - .address_space:  global
        .offset:         16
        .size:           8
        .value_kind:     global_buffer
      - .offset:         24
        .size:           8
        .value_kind:     by_value
      - .offset:         32
        .size:           8
        .value_kind:     by_value
      - .offset:         40
        .size:           8
        .value_kind:     by_value
      - .offset:         48
        .size:           4
        .value_kind:     by_value
    .group_segment_fixed_size: 0
    .kernarg_segment_align: 8
    .kernarg_segment_size: 52
    .language:       OpenCL C
    .language_version:
      - 2
      - 0
    .max_flat_workgroup_size: 256
    .name:           _ZL19rocblas_scal_kernelIlLi256E19rocblas_complex_numIfES1_fPKPS1_EviT3_lT4_lT_li
    .private_segment_fixed_size: 0
    .sgpr_count:     16
    .sgpr_spill_count: 0
    .symbol:         _ZL19rocblas_scal_kernelIlLi256E19rocblas_complex_numIfES1_fPKPS1_EviT3_lT4_lT_li.kd
    .uniform_work_group_size: 1
    .uses_dynamic_stack: false
    .vgpr_count:     12
    .vgpr_spill_count: 0
    .wavefront_size: 32
  - .args:
      - .offset:         0
        .size:           4
        .value_kind:     by_value
      - .address_space:  global
        .offset:         8
        .size:           8
        .value_kind:     global_buffer
      - .offset:         16
        .size:           8
        .value_kind:     by_value
      - .actual_access:  read_only
        .address_space:  global
        .offset:         24
        .size:           8
        .value_kind:     global_buffer
      - .offset:         32
        .size:           8
        .value_kind:     by_value
      - .offset:         40
        .size:           8
        .value_kind:     by_value
      - .offset:         48
        .size:           4
        .value_kind:     by_value
    .group_segment_fixed_size: 0
    .kernarg_segment_align: 8
    .kernarg_segment_size: 52
    .language:       OpenCL C
    .language_version:
      - 2
      - 0
    .max_flat_workgroup_size: 256
    .name:           _ZL22rocblas_sscal_2_kernelILi256E19rocblas_complex_numIdES1_PKdPKPS1_EviT2_lT3_lli
    .private_segment_fixed_size: 0
    .sgpr_count:     18
    .sgpr_spill_count: 0
    .symbol:         _ZL22rocblas_sscal_2_kernelILi256E19rocblas_complex_numIdES1_PKdPKPS1_EviT2_lT3_lli.kd
    .uniform_work_group_size: 1
    .uses_dynamic_stack: false
    .vgpr_count:     20
    .vgpr_spill_count: 0
    .wavefront_size: 32
  - .args:
      - .offset:         0
        .size:           4
        .value_kind:     by_value
      - .offset:         8
        .size:           8
        .value_kind:     by_value
      - .offset:         16
        .size:           8
        .value_kind:     by_value
      - .actual_access:  read_only
        .address_space:  global
        .offset:         24
        .size:           8
        .value_kind:     global_buffer
      - .offset:         32
        .size:           8
        .value_kind:     by_value
      - .offset:         40
        .size:           8
        .value_kind:     by_value
      - .offset:         48
        .size:           4
        .value_kind:     by_value
    .group_segment_fixed_size: 0
    .kernarg_segment_align: 8
    .kernarg_segment_size: 52
    .language:       OpenCL C
    .language_version:
      - 2
      - 0
    .max_flat_workgroup_size: 256
    .name:           _ZL22rocblas_sscal_2_kernelILi256E19rocblas_complex_numIdES1_dPKPS1_EviT2_lT3_lli
    .private_segment_fixed_size: 0
    .sgpr_count:     16
    .sgpr_spill_count: 0
    .symbol:         _ZL22rocblas_sscal_2_kernelILi256E19rocblas_complex_numIdES1_dPKPS1_EviT2_lT3_lli.kd
    .uniform_work_group_size: 1
    .uses_dynamic_stack: false
    .vgpr_count:     18
    .vgpr_spill_count: 0
    .wavefront_size: 32
  - .args:
      - .offset:         0
        .size:           4
        .value_kind:     by_value
      - .address_space:  global
        .offset:         8
        .size:           8
        .value_kind:     global_buffer
      - .offset:         16
        .size:           8
        .value_kind:     by_value
      - .address_space:  global
        .offset:         24
        .size:           8
        .value_kind:     global_buffer
      - .offset:         32
        .size:           8
        .value_kind:     by_value
      - .offset:         40
        .size:           4
        .value_kind:     by_value
      - .offset:         48
        .size:           8
        .value_kind:     by_value
      - .offset:         56
        .size:           4
        .value_kind:     by_value
    .group_segment_fixed_size: 0
    .kernarg_segment_align: 8
    .kernarg_segment_size: 60
    .language:       OpenCL C
    .language_version:
      - 2
      - 0
    .max_flat_workgroup_size: 256
    .name:           _ZL19rocblas_scal_kernelIiLi256E19rocblas_complex_numIdES1_PKdPKPS1_EviT3_lT4_lT_li
    .private_segment_fixed_size: 0
    .sgpr_count:     18
    .sgpr_spill_count: 0
    .symbol:         _ZL19rocblas_scal_kernelIiLi256E19rocblas_complex_numIdES1_PKdPKPS1_EviT3_lT4_lT_li.kd
    .uniform_work_group_size: 1
    .uses_dynamic_stack: false
    .vgpr_count:     16
    .vgpr_spill_count: 0
    .wavefront_size: 32
  - .args:
      - .offset:         0
        .size:           4
        .value_kind:     by_value
      - .offset:         8
        .size:           8
        .value_kind:     by_value
      - .offset:         16
        .size:           8
        .value_kind:     by_value
      - .address_space:  global
        .offset:         24
        .size:           8
        .value_kind:     global_buffer
      - .offset:         32
        .size:           8
        .value_kind:     by_value
      - .offset:         40
        .size:           4
        .value_kind:     by_value
      - .offset:         48
        .size:           8
        .value_kind:     by_value
      - .offset:         56
        .size:           4
        .value_kind:     by_value
    .group_segment_fixed_size: 0
    .kernarg_segment_align: 8
    .kernarg_segment_size: 60
    .language:       OpenCL C
    .language_version:
      - 2
      - 0
    .max_flat_workgroup_size: 256
    .name:           _ZL19rocblas_scal_kernelIiLi256E19rocblas_complex_numIdES1_dPKPS1_EviT3_lT4_lT_li
    .private_segment_fixed_size: 0
    .sgpr_count:     16
    .sgpr_spill_count: 0
    .symbol:         _ZL19rocblas_scal_kernelIiLi256E19rocblas_complex_numIdES1_dPKPS1_EviT3_lT4_lT_li.kd
    .uniform_work_group_size: 1
    .uses_dynamic_stack: false
    .vgpr_count:     12
    .vgpr_spill_count: 0
    .wavefront_size: 32
  - .args:
      - .offset:         0
        .size:           4
        .value_kind:     by_value
      - .address_space:  global
        .offset:         8
        .size:           8
        .value_kind:     global_buffer
      - .offset:         16
        .size:           8
        .value_kind:     by_value
      - .address_space:  global
        .offset:         24
        .size:           8
        .value_kind:     global_buffer
      - .offset:         32
        .size:           8
        .value_kind:     by_value
      - .offset:         40
        .size:           8
        .value_kind:     by_value
      - .offset:         48
        .size:           8
        .value_kind:     by_value
      - .offset:         56
        .size:           4
        .value_kind:     by_value
    .group_segment_fixed_size: 0
    .kernarg_segment_align: 8
    .kernarg_segment_size: 60
    .language:       OpenCL C
    .language_version:
      - 2
      - 0
    .max_flat_workgroup_size: 256
    .name:           _ZL19rocblas_scal_kernelIlLi256E19rocblas_complex_numIdES1_PKdPKPS1_EviT3_lT4_lT_li
    .private_segment_fixed_size: 0
    .sgpr_count:     18
    .sgpr_spill_count: 0
    .symbol:         _ZL19rocblas_scal_kernelIlLi256E19rocblas_complex_numIdES1_PKdPKPS1_EviT3_lT4_lT_li.kd
    .uniform_work_group_size: 1
    .uses_dynamic_stack: false
    .vgpr_count:     16
    .vgpr_spill_count: 0
    .wavefront_size: 32
  - .args:
      - .offset:         0
        .size:           4
        .value_kind:     by_value
      - .offset:         8
        .size:           8
        .value_kind:     by_value
      - .offset:         16
        .size:           8
        .value_kind:     by_value
      - .address_space:  global
        .offset:         24
        .size:           8
        .value_kind:     global_buffer
      - .offset:         32
        .size:           8
        .value_kind:     by_value
      - .offset:         40
        .size:           8
        .value_kind:     by_value
      - .offset:         48
        .size:           8
        .value_kind:     by_value
      - .offset:         56
        .size:           4
        .value_kind:     by_value
    .group_segment_fixed_size: 0
    .kernarg_segment_align: 8
    .kernarg_segment_size: 60
    .language:       OpenCL C
    .language_version:
      - 2
      - 0
    .max_flat_workgroup_size: 256
    .name:           _ZL19rocblas_scal_kernelIlLi256E19rocblas_complex_numIdES1_dPKPS1_EviT3_lT4_lT_li
    .private_segment_fixed_size: 0
    .sgpr_count:     16
    .sgpr_spill_count: 0
    .symbol:         _ZL19rocblas_scal_kernelIlLi256E19rocblas_complex_numIdES1_dPKPS1_EviT3_lT4_lT_li.kd
    .uniform_work_group_size: 1
    .uses_dynamic_stack: false
    .vgpr_count:     12
    .vgpr_spill_count: 0
    .wavefront_size: 32
  - .args:
      - .offset:         0
        .size:           4
        .value_kind:     by_value
      - .address_space:  global
        .offset:         8
        .size:           8
        .value_kind:     global_buffer
      - .offset:         16
        .size:           8
        .value_kind:     by_value
      - .address_space:  global
        .offset:         24
        .size:           8
        .value_kind:     global_buffer
      - .offset:         32
        .size:           8
        .value_kind:     by_value
      - .offset:         40
        .size:           8
        .value_kind:     by_value
      - .offset:         48
        .size:           4
        .value_kind:     by_value
    .group_segment_fixed_size: 0
    .kernarg_segment_align: 8
    .kernarg_segment_size: 52
    .language:       OpenCL C
    .language_version:
      - 2
      - 0
    .max_flat_workgroup_size: 256
    .name:           _ZL22rocblas_sscal_2_kernelILi256EDF16_fPKDF16_PDF16_EviT2_lT3_lli
    .private_segment_fixed_size: 0
    .sgpr_count:     20
    .sgpr_spill_count: 0
    .symbol:         _ZL22rocblas_sscal_2_kernelILi256EDF16_fPKDF16_PDF16_EviT2_lT3_lli.kd
    .uniform_work_group_size: 1
    .uses_dynamic_stack: false
    .vgpr_count:     6
    .vgpr_spill_count: 0
    .wavefront_size: 32
  - .args:
      - .offset:         0
        .size:           4
        .value_kind:     by_value
      - .offset:         4
        .size:           2
        .value_kind:     by_value
      - .offset:         8
        .size:           8
        .value_kind:     by_value
      - .address_space:  global
        .offset:         16
        .size:           8
        .value_kind:     global_buffer
      - .offset:         24
        .size:           8
        .value_kind:     by_value
      - .offset:         32
        .size:           8
        .value_kind:     by_value
      - .offset:         40
        .size:           4
        .value_kind:     by_value
    .group_segment_fixed_size: 0
    .kernarg_segment_align: 8
    .kernarg_segment_size: 44
    .language:       OpenCL C
    .language_version:
      - 2
      - 0
    .max_flat_workgroup_size: 256
    .name:           _ZL22rocblas_sscal_2_kernelILi256EDF16_fDF16_PDF16_EviT2_lT3_lli
    .private_segment_fixed_size: 0
    .sgpr_count:     18
    .sgpr_spill_count: 0
    .symbol:         _ZL22rocblas_sscal_2_kernelILi256EDF16_fDF16_PDF16_EviT2_lT3_lli.kd
    .uniform_work_group_size: 1
    .uses_dynamic_stack: false
    .vgpr_count:     5
    .vgpr_spill_count: 0
    .wavefront_size: 32
  - .args:
      - .offset:         0
        .size:           4
        .value_kind:     by_value
      - .address_space:  global
        .offset:         8
        .size:           8
        .value_kind:     global_buffer
      - .offset:         16
        .size:           8
        .value_kind:     by_value
      - .address_space:  global
        .offset:         24
        .size:           8
        .value_kind:     global_buffer
      - .offset:         32
        .size:           8
        .value_kind:     by_value
      - .offset:         40
        .size:           4
        .value_kind:     by_value
      - .offset:         48
        .size:           8
        .value_kind:     by_value
      - .offset:         56
        .size:           4
        .value_kind:     by_value
    .group_segment_fixed_size: 0
    .kernarg_segment_align: 8
    .kernarg_segment_size: 60
    .language:       OpenCL C
    .language_version:
      - 2
      - 0
    .max_flat_workgroup_size: 256
    .name:           _ZL19rocblas_scal_kernelIiLi256EDF16_fPKDF16_PDF16_EviT3_lT4_lT_li
    .private_segment_fixed_size: 0
    .sgpr_count:     21
    .sgpr_spill_count: 0
    .symbol:         _ZL19rocblas_scal_kernelIiLi256EDF16_fPKDF16_PDF16_EviT3_lT4_lT_li.kd
    .uniform_work_group_size: 1
    .uses_dynamic_stack: false
    .vgpr_count:     7
    .vgpr_spill_count: 0
    .wavefront_size: 32
  - .args:
      - .offset:         0
        .size:           4
        .value_kind:     by_value
      - .offset:         4
        .size:           2
        .value_kind:     by_value
      - .offset:         8
        .size:           8
        .value_kind:     by_value
      - .address_space:  global
        .offset:         16
        .size:           8
        .value_kind:     global_buffer
      - .offset:         24
        .size:           8
        .value_kind:     by_value
      - .offset:         32
        .size:           4
        .value_kind:     by_value
      - .offset:         40
        .size:           8
        .value_kind:     by_value
      - .offset:         48
        .size:           4
        .value_kind:     by_value
    .group_segment_fixed_size: 0
    .kernarg_segment_align: 8
    .kernarg_segment_size: 52
    .language:       OpenCL C
    .language_version:
      - 2
      - 0
    .max_flat_workgroup_size: 256
    .name:           _ZL19rocblas_scal_kernelIiLi256EDF16_fDF16_PDF16_EviT3_lT4_lT_li
    .private_segment_fixed_size: 0
    .sgpr_count:     17
    .sgpr_spill_count: 0
    .symbol:         _ZL19rocblas_scal_kernelIiLi256EDF16_fDF16_PDF16_EviT3_lT4_lT_li.kd
    .uniform_work_group_size: 1
    .uses_dynamic_stack: false
    .vgpr_count:     5
    .vgpr_spill_count: 0
    .wavefront_size: 32
  - .args:
      - .offset:         0
        .size:           4
        .value_kind:     by_value
      - .address_space:  global
        .offset:         8
        .size:           8
        .value_kind:     global_buffer
      - .offset:         16
        .size:           8
        .value_kind:     by_value
      - .address_space:  global
        .offset:         24
        .size:           8
        .value_kind:     global_buffer
      - .offset:         32
        .size:           8
        .value_kind:     by_value
      - .offset:         40
        .size:           8
        .value_kind:     by_value
      - .offset:         48
        .size:           8
        .value_kind:     by_value
      - .offset:         56
        .size:           4
        .value_kind:     by_value
    .group_segment_fixed_size: 0
    .kernarg_segment_align: 8
    .kernarg_segment_size: 60
    .language:       OpenCL C
    .language_version:
      - 2
      - 0
    .max_flat_workgroup_size: 256
    .name:           _ZL19rocblas_scal_kernelIlLi256EDF16_fPKDF16_PDF16_EviT3_lT4_lT_li
    .private_segment_fixed_size: 0
    .sgpr_count:     22
    .sgpr_spill_count: 0
    .symbol:         _ZL19rocblas_scal_kernelIlLi256EDF16_fPKDF16_PDF16_EviT3_lT4_lT_li.kd
    .uniform_work_group_size: 1
    .uses_dynamic_stack: false
    .vgpr_count:     7
    .vgpr_spill_count: 0
    .wavefront_size: 32
  - .args:
      - .offset:         0
        .size:           4
        .value_kind:     by_value
      - .offset:         4
        .size:           2
        .value_kind:     by_value
      - .offset:         8
        .size:           8
        .value_kind:     by_value
      - .address_space:  global
        .offset:         16
        .size:           8
        .value_kind:     global_buffer
      - .offset:         24
        .size:           8
        .value_kind:     by_value
      - .offset:         32
        .size:           8
        .value_kind:     by_value
      - .offset:         40
        .size:           8
        .value_kind:     by_value
      - .offset:         48
        .size:           4
        .value_kind:     by_value
    .group_segment_fixed_size: 0
    .kernarg_segment_align: 8
    .kernarg_segment_size: 52
    .language:       OpenCL C
    .language_version:
      - 2
      - 0
    .max_flat_workgroup_size: 256
    .name:           _ZL19rocblas_scal_kernelIlLi256EDF16_fDF16_PDF16_EviT3_lT4_lT_li
    .private_segment_fixed_size: 0
    .sgpr_count:     18
    .sgpr_spill_count: 0
    .symbol:         _ZL19rocblas_scal_kernelIlLi256EDF16_fDF16_PDF16_EviT3_lT4_lT_li.kd
    .uniform_work_group_size: 1
    .uses_dynamic_stack: false
    .vgpr_count:     5
    .vgpr_spill_count: 0
    .wavefront_size: 32
  - .args:
      - .offset:         0
        .size:           4
        .value_kind:     by_value
      - .address_space:  global
        .offset:         8
        .size:           8
        .value_kind:     global_buffer
      - .offset:         16
        .size:           8
        .value_kind:     by_value
      - .address_space:  global
        .offset:         24
        .size:           8
        .value_kind:     global_buffer
      - .offset:         32
        .size:           8
        .value_kind:     by_value
      - .offset:         40
        .size:           8
        .value_kind:     by_value
      - .offset:         48
        .size:           4
        .value_kind:     by_value
    .group_segment_fixed_size: 0
    .kernarg_segment_align: 8
    .kernarg_segment_size: 52
    .language:       OpenCL C
    .language_version:
      - 2
      - 0
    .max_flat_workgroup_size: 256
    .name:           _ZL22rocblas_sscal_2_kernelILi256EDF16_fPKfPDF16_EviT2_lT3_lli
    .private_segment_fixed_size: 0
    .sgpr_count:     20
    .sgpr_spill_count: 0
    .symbol:         _ZL22rocblas_sscal_2_kernelILi256EDF16_fPKfPDF16_EviT2_lT3_lli.kd
    .uniform_work_group_size: 1
    .uses_dynamic_stack: false
    .vgpr_count:     6
    .vgpr_spill_count: 0
    .wavefront_size: 32
  - .args:
      - .offset:         0
        .size:           4
        .value_kind:     by_value
      - .offset:         4
        .size:           4
        .value_kind:     by_value
      - .offset:         8
        .size:           8
        .value_kind:     by_value
      - .address_space:  global
        .offset:         16
        .size:           8
        .value_kind:     global_buffer
      - .offset:         24
        .size:           8
        .value_kind:     by_value
      - .offset:         32
        .size:           8
        .value_kind:     by_value
      - .offset:         40
        .size:           4
        .value_kind:     by_value
    .group_segment_fixed_size: 0
    .kernarg_segment_align: 8
    .kernarg_segment_size: 44
    .language:       OpenCL C
    .language_version:
      - 2
      - 0
    .max_flat_workgroup_size: 256
    .name:           _ZL22rocblas_sscal_2_kernelILi256EDF16_ffPDF16_EviT2_lT3_lli
    .private_segment_fixed_size: 0
    .sgpr_count:     18
    .sgpr_spill_count: 0
    .symbol:         _ZL22rocblas_sscal_2_kernelILi256EDF16_ffPDF16_EviT2_lT3_lli.kd
    .uniform_work_group_size: 1
    .uses_dynamic_stack: false
    .vgpr_count:     8
    .vgpr_spill_count: 0
    .wavefront_size: 32
  - .args:
      - .offset:         0
        .size:           4
        .value_kind:     by_value
      - .address_space:  global
        .offset:         8
        .size:           8
        .value_kind:     global_buffer
      - .offset:         16
        .size:           8
        .value_kind:     by_value
      - .address_space:  global
        .offset:         24
        .size:           8
        .value_kind:     global_buffer
      - .offset:         32
        .size:           8
        .value_kind:     by_value
      - .offset:         40
        .size:           4
        .value_kind:     by_value
      - .offset:         48
        .size:           8
        .value_kind:     by_value
      - .offset:         56
        .size:           4
        .value_kind:     by_value
    .group_segment_fixed_size: 0
    .kernarg_segment_align: 8
    .kernarg_segment_size: 60
    .language:       OpenCL C
    .language_version:
      - 2
      - 0
    .max_flat_workgroup_size: 256
    .name:           _ZL19rocblas_scal_kernelIiLi256EDF16_fPKfPDF16_EviT3_lT4_lT_li
    .private_segment_fixed_size: 0
    .sgpr_count:     21
    .sgpr_spill_count: 0
    .symbol:         _ZL19rocblas_scal_kernelIiLi256EDF16_fPKfPDF16_EviT3_lT4_lT_li.kd
    .uniform_work_group_size: 1
    .uses_dynamic_stack: false
    .vgpr_count:     5
    .vgpr_spill_count: 0
    .wavefront_size: 32
  - .args:
      - .offset:         0
        .size:           4
        .value_kind:     by_value
      - .offset:         4
        .size:           4
        .value_kind:     by_value
      - .offset:         8
        .size:           8
        .value_kind:     by_value
      - .address_space:  global
        .offset:         16
        .size:           8
        .value_kind:     global_buffer
      - .offset:         24
        .size:           8
        .value_kind:     by_value
      - .offset:         32
        .size:           4
        .value_kind:     by_value
      - .offset:         40
        .size:           8
        .value_kind:     by_value
      - .offset:         48
        .size:           4
        .value_kind:     by_value
    .group_segment_fixed_size: 0
    .kernarg_segment_align: 8
    .kernarg_segment_size: 52
    .language:       OpenCL C
    .language_version:
      - 2
      - 0
    .max_flat_workgroup_size: 256
    .name:           _ZL19rocblas_scal_kernelIiLi256EDF16_ffPDF16_EviT3_lT4_lT_li
    .private_segment_fixed_size: 0
    .sgpr_count:     17
    .sgpr_spill_count: 0
    .symbol:         _ZL19rocblas_scal_kernelIiLi256EDF16_ffPDF16_EviT3_lT4_lT_li.kd
    .uniform_work_group_size: 1
    .uses_dynamic_stack: false
    .vgpr_count:     5
    .vgpr_spill_count: 0
    .wavefront_size: 32
  - .args:
      - .offset:         0
        .size:           4
        .value_kind:     by_value
      - .address_space:  global
        .offset:         8
        .size:           8
        .value_kind:     global_buffer
      - .offset:         16
        .size:           8
        .value_kind:     by_value
      - .address_space:  global
        .offset:         24
        .size:           8
        .value_kind:     global_buffer
      - .offset:         32
        .size:           8
        .value_kind:     by_value
      - .offset:         40
        .size:           8
        .value_kind:     by_value
      - .offset:         48
        .size:           8
        .value_kind:     by_value
      - .offset:         56
        .size:           4
        .value_kind:     by_value
    .group_segment_fixed_size: 0
    .kernarg_segment_align: 8
    .kernarg_segment_size: 60
    .language:       OpenCL C
    .language_version:
      - 2
      - 0
    .max_flat_workgroup_size: 256
    .name:           _ZL19rocblas_scal_kernelIlLi256EDF16_fPKfPDF16_EviT3_lT4_lT_li
    .private_segment_fixed_size: 0
    .sgpr_count:     22
    .sgpr_spill_count: 0
    .symbol:         _ZL19rocblas_scal_kernelIlLi256EDF16_fPKfPDF16_EviT3_lT4_lT_li.kd
    .uniform_work_group_size: 1
    .uses_dynamic_stack: false
    .vgpr_count:     5
    .vgpr_spill_count: 0
    .wavefront_size: 32
  - .args:
      - .offset:         0
        .size:           4
        .value_kind:     by_value
      - .offset:         4
        .size:           4
        .value_kind:     by_value
      - .offset:         8
        .size:           8
        .value_kind:     by_value
      - .address_space:  global
        .offset:         16
        .size:           8
        .value_kind:     global_buffer
      - .offset:         24
        .size:           8
        .value_kind:     by_value
      - .offset:         32
        .size:           8
        .value_kind:     by_value
      - .offset:         40
        .size:           8
        .value_kind:     by_value
      - .offset:         48
        .size:           4
        .value_kind:     by_value
    .group_segment_fixed_size: 0
    .kernarg_segment_align: 8
    .kernarg_segment_size: 52
    .language:       OpenCL C
    .language_version:
      - 2
      - 0
    .max_flat_workgroup_size: 256
    .name:           _ZL19rocblas_scal_kernelIlLi256EDF16_ffPDF16_EviT3_lT4_lT_li
    .private_segment_fixed_size: 0
    .sgpr_count:     18
    .sgpr_spill_count: 0
    .symbol:         _ZL19rocblas_scal_kernelIlLi256EDF16_ffPDF16_EviT3_lT4_lT_li.kd
    .uniform_work_group_size: 1
    .uses_dynamic_stack: false
    .vgpr_count:     5
    .vgpr_spill_count: 0
    .wavefront_size: 32
  - .args:
      - .offset:         0
        .size:           4
        .value_kind:     by_value
      - .address_space:  global
        .offset:         8
        .size:           8
        .value_kind:     global_buffer
      - .offset:         16
        .size:           8
        .value_kind:     by_value
      - .address_space:  global
        .offset:         24
        .size:           8
        .value_kind:     global_buffer
      - .offset:         32
        .size:           8
        .value_kind:     by_value
      - .offset:         40
        .size:           8
        .value_kind:     by_value
      - .offset:         48
        .size:           4
        .value_kind:     by_value
    .group_segment_fixed_size: 0
    .kernarg_segment_align: 8
    .kernarg_segment_size: 52
    .language:       OpenCL C
    .language_version:
      - 2
      - 0
    .max_flat_workgroup_size: 256
    .name:           _ZL22rocblas_sscal_2_kernelILi256E16rocblas_bfloat16fPKS0_PS0_EviT2_lT3_lli
    .private_segment_fixed_size: 0
    .sgpr_count:     20
    .sgpr_spill_count: 0
    .symbol:         _ZL22rocblas_sscal_2_kernelILi256E16rocblas_bfloat16fPKS0_PS0_EviT2_lT3_lli.kd
    .uniform_work_group_size: 1
    .uses_dynamic_stack: false
    .vgpr_count:     7
    .vgpr_spill_count: 0
    .wavefront_size: 32
  - .args:
      - .offset:         0
        .size:           4
        .value_kind:     by_value
      - .offset:         4
        .size:           2
        .value_kind:     by_value
      - .offset:         8
        .size:           8
        .value_kind:     by_value
      - .address_space:  global
        .offset:         16
        .size:           8
        .value_kind:     global_buffer
      - .offset:         24
        .size:           8
        .value_kind:     by_value
      - .offset:         32
        .size:           8
        .value_kind:     by_value
      - .offset:         40
        .size:           4
        .value_kind:     by_value
    .group_segment_fixed_size: 0
    .kernarg_segment_align: 8
    .kernarg_segment_size: 44
    .language:       OpenCL C
    .language_version:
      - 2
      - 0
    .max_flat_workgroup_size: 256
    .name:           _ZL22rocblas_sscal_2_kernelILi256E16rocblas_bfloat16fS0_PS0_EviT2_lT3_lli
    .private_segment_fixed_size: 0
    .sgpr_count:     18
    .sgpr_spill_count: 0
    .symbol:         _ZL22rocblas_sscal_2_kernelILi256E16rocblas_bfloat16fS0_PS0_EviT2_lT3_lli.kd
    .uniform_work_group_size: 1
    .uses_dynamic_stack: false
    .vgpr_count:     7
    .vgpr_spill_count: 0
    .wavefront_size: 32
  - .args:
      - .offset:         0
        .size:           4
        .value_kind:     by_value
      - .address_space:  global
        .offset:         8
        .size:           8
        .value_kind:     global_buffer
      - .offset:         16
        .size:           8
        .value_kind:     by_value
      - .address_space:  global
        .offset:         24
        .size:           8
        .value_kind:     global_buffer
      - .offset:         32
        .size:           8
        .value_kind:     by_value
      - .offset:         40
        .size:           4
        .value_kind:     by_value
      - .offset:         48
        .size:           8
        .value_kind:     by_value
      - .offset:         56
        .size:           4
        .value_kind:     by_value
    .group_segment_fixed_size: 0
    .kernarg_segment_align: 8
    .kernarg_segment_size: 60
    .language:       OpenCL C
    .language_version:
      - 2
      - 0
    .max_flat_workgroup_size: 256
    .name:           _ZL19rocblas_scal_kernelIiLi256E16rocblas_bfloat16fPKS0_PS0_EviT3_lT4_lT_li
    .private_segment_fixed_size: 0
    .sgpr_count:     21
    .sgpr_spill_count: 0
    .symbol:         _ZL19rocblas_scal_kernelIiLi256E16rocblas_bfloat16fPKS0_PS0_EviT3_lT4_lT_li.kd
    .uniform_work_group_size: 1
    .uses_dynamic_stack: false
    .vgpr_count:     8
    .vgpr_spill_count: 0
    .wavefront_size: 32
  - .args:
      - .offset:         0
        .size:           4
        .value_kind:     by_value
      - .offset:         4
        .size:           2
        .value_kind:     by_value
      - .offset:         8
        .size:           8
        .value_kind:     by_value
      - .address_space:  global
        .offset:         16
        .size:           8
        .value_kind:     global_buffer
      - .offset:         24
        .size:           8
        .value_kind:     by_value
      - .offset:         32
        .size:           4
        .value_kind:     by_value
      - .offset:         40
        .size:           8
        .value_kind:     by_value
      - .offset:         48
        .size:           4
        .value_kind:     by_value
    .group_segment_fixed_size: 0
    .kernarg_segment_align: 8
    .kernarg_segment_size: 52
    .language:       OpenCL C
    .language_version:
      - 2
      - 0
    .max_flat_workgroup_size: 256
    .name:           _ZL19rocblas_scal_kernelIiLi256E16rocblas_bfloat16fS0_PS0_EviT3_lT4_lT_li
    .private_segment_fixed_size: 0
    .sgpr_count:     17
    .sgpr_spill_count: 0
    .symbol:         _ZL19rocblas_scal_kernelIiLi256E16rocblas_bfloat16fS0_PS0_EviT3_lT4_lT_li.kd
    .uniform_work_group_size: 1
    .uses_dynamic_stack: false
    .vgpr_count:     7
    .vgpr_spill_count: 0
    .wavefront_size: 32
  - .args:
      - .offset:         0
        .size:           4
        .value_kind:     by_value
      - .address_space:  global
        .offset:         8
        .size:           8
        .value_kind:     global_buffer
      - .offset:         16
        .size:           8
        .value_kind:     by_value
      - .address_space:  global
        .offset:         24
        .size:           8
        .value_kind:     global_buffer
      - .offset:         32
        .size:           8
        .value_kind:     by_value
      - .offset:         40
        .size:           8
        .value_kind:     by_value
      - .offset:         48
        .size:           8
        .value_kind:     by_value
      - .offset:         56
        .size:           4
        .value_kind:     by_value
    .group_segment_fixed_size: 0
    .kernarg_segment_align: 8
    .kernarg_segment_size: 60
    .language:       OpenCL C
    .language_version:
      - 2
      - 0
    .max_flat_workgroup_size: 256
    .name:           _ZL19rocblas_scal_kernelIlLi256E16rocblas_bfloat16fPKS0_PS0_EviT3_lT4_lT_li
    .private_segment_fixed_size: 0
    .sgpr_count:     22
    .sgpr_spill_count: 0
    .symbol:         _ZL19rocblas_scal_kernelIlLi256E16rocblas_bfloat16fPKS0_PS0_EviT3_lT4_lT_li.kd
    .uniform_work_group_size: 1
    .uses_dynamic_stack: false
    .vgpr_count:     8
    .vgpr_spill_count: 0
    .wavefront_size: 32
  - .args:
      - .offset:         0
        .size:           4
        .value_kind:     by_value
      - .offset:         4
        .size:           2
        .value_kind:     by_value
      - .offset:         8
        .size:           8
        .value_kind:     by_value
      - .address_space:  global
        .offset:         16
        .size:           8
        .value_kind:     global_buffer
      - .offset:         24
        .size:           8
        .value_kind:     by_value
      - .offset:         32
        .size:           8
        .value_kind:     by_value
      - .offset:         40
        .size:           8
        .value_kind:     by_value
      - .offset:         48
        .size:           4
        .value_kind:     by_value
    .group_segment_fixed_size: 0
    .kernarg_segment_align: 8
    .kernarg_segment_size: 52
    .language:       OpenCL C
    .language_version:
      - 2
      - 0
    .max_flat_workgroup_size: 256
    .name:           _ZL19rocblas_scal_kernelIlLi256E16rocblas_bfloat16fS0_PS0_EviT3_lT4_lT_li
    .private_segment_fixed_size: 0
    .sgpr_count:     18
    .sgpr_spill_count: 0
    .symbol:         _ZL19rocblas_scal_kernelIlLi256E16rocblas_bfloat16fS0_PS0_EviT3_lT4_lT_li.kd
    .uniform_work_group_size: 1
    .uses_dynamic_stack: false
    .vgpr_count:     7
    .vgpr_spill_count: 0
    .wavefront_size: 32
  - .args:
      - .offset:         0
        .size:           4
        .value_kind:     by_value
      - .address_space:  global
        .offset:         8
        .size:           8
        .value_kind:     global_buffer
      - .offset:         16
        .size:           8
        .value_kind:     by_value
      - .address_space:  global
        .offset:         24
        .size:           8
        .value_kind:     global_buffer
      - .offset:         32
        .size:           8
        .value_kind:     by_value
      - .offset:         40
        .size:           8
        .value_kind:     by_value
      - .offset:         48
        .size:           4
        .value_kind:     by_value
    .group_segment_fixed_size: 0
    .kernarg_segment_align: 8
    .kernarg_segment_size: 52
    .language:       OpenCL C
    .language_version:
      - 2
      - 0
    .max_flat_workgroup_size: 256
    .name:           _ZL22rocblas_sscal_2_kernelILi256E16rocblas_bfloat16fPKfPS0_EviT2_lT3_lli
    .private_segment_fixed_size: 0
    .sgpr_count:     20
    .sgpr_spill_count: 0
    .symbol:         _ZL22rocblas_sscal_2_kernelILi256E16rocblas_bfloat16fPKfPS0_EviT2_lT3_lli.kd
    .uniform_work_group_size: 1
    .uses_dynamic_stack: false
    .vgpr_count:     7
    .vgpr_spill_count: 0
    .wavefront_size: 32
  - .args:
      - .offset:         0
        .size:           4
        .value_kind:     by_value
      - .offset:         4
        .size:           4
        .value_kind:     by_value
      - .offset:         8
        .size:           8
        .value_kind:     by_value
      - .address_space:  global
        .offset:         16
        .size:           8
        .value_kind:     global_buffer
      - .offset:         24
        .size:           8
        .value_kind:     by_value
      - .offset:         32
        .size:           8
        .value_kind:     by_value
      - .offset:         40
        .size:           4
        .value_kind:     by_value
    .group_segment_fixed_size: 0
    .kernarg_segment_align: 8
    .kernarg_segment_size: 44
    .language:       OpenCL C
    .language_version:
      - 2
      - 0
    .max_flat_workgroup_size: 256
    .name:           _ZL22rocblas_sscal_2_kernelILi256E16rocblas_bfloat16ffPS0_EviT2_lT3_lli
    .private_segment_fixed_size: 0
    .sgpr_count:     17
    .sgpr_spill_count: 0
    .symbol:         _ZL22rocblas_sscal_2_kernelILi256E16rocblas_bfloat16ffPS0_EviT2_lT3_lli.kd
    .uniform_work_group_size: 1
    .uses_dynamic_stack: false
    .vgpr_count:     7
    .vgpr_spill_count: 0
    .wavefront_size: 32
  - .args:
      - .offset:         0
        .size:           4
        .value_kind:     by_value
      - .address_space:  global
        .offset:         8
        .size:           8
        .value_kind:     global_buffer
      - .offset:         16
        .size:           8
        .value_kind:     by_value
      - .address_space:  global
        .offset:         24
        .size:           8
        .value_kind:     global_buffer
      - .offset:         32
        .size:           8
        .value_kind:     by_value
      - .offset:         40
        .size:           4
        .value_kind:     by_value
      - .offset:         48
        .size:           8
        .value_kind:     by_value
      - .offset:         56
        .size:           4
        .value_kind:     by_value
    .group_segment_fixed_size: 0
    .kernarg_segment_align: 8
    .kernarg_segment_size: 60
    .language:       OpenCL C
    .language_version:
      - 2
      - 0
    .max_flat_workgroup_size: 256
    .name:           _ZL19rocblas_scal_kernelIiLi256E16rocblas_bfloat16fPKfPS0_EviT3_lT4_lT_li
    .private_segment_fixed_size: 0
    .sgpr_count:     21
    .sgpr_spill_count: 0
    .symbol:         _ZL19rocblas_scal_kernelIiLi256E16rocblas_bfloat16fPKfPS0_EviT3_lT4_lT_li.kd
    .uniform_work_group_size: 1
    .uses_dynamic_stack: false
    .vgpr_count:     7
    .vgpr_spill_count: 0
    .wavefront_size: 32
  - .args:
      - .offset:         0
        .size:           4
        .value_kind:     by_value
      - .offset:         4
        .size:           4
        .value_kind:     by_value
      - .offset:         8
        .size:           8
        .value_kind:     by_value
      - .address_space:  global
        .offset:         16
        .size:           8
        .value_kind:     global_buffer
      - .offset:         24
        .size:           8
        .value_kind:     by_value
      - .offset:         32
        .size:           4
        .value_kind:     by_value
      - .offset:         40
        .size:           8
        .value_kind:     by_value
      - .offset:         48
        .size:           4
        .value_kind:     by_value
    .group_segment_fixed_size: 0
    .kernarg_segment_align: 8
    .kernarg_segment_size: 52
    .language:       OpenCL C
    .language_version:
      - 2
      - 0
    .max_flat_workgroup_size: 256
    .name:           _ZL19rocblas_scal_kernelIiLi256E16rocblas_bfloat16ffPS0_EviT3_lT4_lT_li
    .private_segment_fixed_size: 0
    .sgpr_count:     17
    .sgpr_spill_count: 0
    .symbol:         _ZL19rocblas_scal_kernelIiLi256E16rocblas_bfloat16ffPS0_EviT3_lT4_lT_li.kd
    .uniform_work_group_size: 1
    .uses_dynamic_stack: false
    .vgpr_count:     7
    .vgpr_spill_count: 0
    .wavefront_size: 32
  - .args:
      - .offset:         0
        .size:           4
        .value_kind:     by_value
      - .address_space:  global
        .offset:         8
        .size:           8
        .value_kind:     global_buffer
      - .offset:         16
        .size:           8
        .value_kind:     by_value
      - .address_space:  global
        .offset:         24
        .size:           8
        .value_kind:     global_buffer
      - .offset:         32
        .size:           8
        .value_kind:     by_value
      - .offset:         40
        .size:           8
        .value_kind:     by_value
      - .offset:         48
        .size:           8
        .value_kind:     by_value
      - .offset:         56
        .size:           4
        .value_kind:     by_value
    .group_segment_fixed_size: 0
    .kernarg_segment_align: 8
    .kernarg_segment_size: 60
    .language:       OpenCL C
    .language_version:
      - 2
      - 0
    .max_flat_workgroup_size: 256
    .name:           _ZL19rocblas_scal_kernelIlLi256E16rocblas_bfloat16fPKfPS0_EviT3_lT4_lT_li
    .private_segment_fixed_size: 0
    .sgpr_count:     22
    .sgpr_spill_count: 0
    .symbol:         _ZL19rocblas_scal_kernelIlLi256E16rocblas_bfloat16fPKfPS0_EviT3_lT4_lT_li.kd
    .uniform_work_group_size: 1
    .uses_dynamic_stack: false
    .vgpr_count:     7
    .vgpr_spill_count: 0
    .wavefront_size: 32
  - .args:
      - .offset:         0
        .size:           4
        .value_kind:     by_value
      - .offset:         4
        .size:           4
        .value_kind:     by_value
      - .offset:         8
        .size:           8
        .value_kind:     by_value
      - .address_space:  global
        .offset:         16
        .size:           8
        .value_kind:     global_buffer
      - .offset:         24
        .size:           8
        .value_kind:     by_value
      - .offset:         32
        .size:           8
        .value_kind:     by_value
      - .offset:         40
        .size:           8
        .value_kind:     by_value
      - .offset:         48
        .size:           4
        .value_kind:     by_value
    .group_segment_fixed_size: 0
    .kernarg_segment_align: 8
    .kernarg_segment_size: 52
    .language:       OpenCL C
    .language_version:
      - 2
      - 0
    .max_flat_workgroup_size: 256
    .name:           _ZL19rocblas_scal_kernelIlLi256E16rocblas_bfloat16ffPS0_EviT3_lT4_lT_li
    .private_segment_fixed_size: 0
    .sgpr_count:     18
    .sgpr_spill_count: 0
    .symbol:         _ZL19rocblas_scal_kernelIlLi256E16rocblas_bfloat16ffPS0_EviT3_lT4_lT_li.kd
    .uniform_work_group_size: 1
    .uses_dynamic_stack: false
    .vgpr_count:     7
    .vgpr_spill_count: 0
    .wavefront_size: 32
  - .args:
      - .offset:         0
        .size:           4
        .value_kind:     by_value
      - .address_space:  global
        .offset:         8
        .size:           8
        .value_kind:     global_buffer
      - .offset:         16
        .size:           8
        .value_kind:     by_value
      - .actual_access:  read_only
        .address_space:  global
        .offset:         24
        .size:           8
        .value_kind:     global_buffer
      - .offset:         32
        .size:           8
        .value_kind:     by_value
      - .offset:         40
        .size:           8
        .value_kind:     by_value
      - .offset:         48
        .size:           4
        .value_kind:     by_value
    .group_segment_fixed_size: 0
    .kernarg_segment_align: 8
    .kernarg_segment_size: 52
    .language:       OpenCL C
    .language_version:
      - 2
      - 0
    .max_flat_workgroup_size: 256
    .name:           _ZL22rocblas_sscal_2_kernelILi256EDF16_fPKDF16_PKPDF16_EviT2_lT3_lli
    .private_segment_fixed_size: 0
    .sgpr_count:     18
    .sgpr_spill_count: 0
    .symbol:         _ZL22rocblas_sscal_2_kernelILi256EDF16_fPKDF16_PKPDF16_EviT2_lT3_lli.kd
    .uniform_work_group_size: 1
    .uses_dynamic_stack: false
    .vgpr_count:     6
    .vgpr_spill_count: 0
    .wavefront_size: 32
  - .args:
      - .offset:         0
        .size:           4
        .value_kind:     by_value
      - .offset:         4
        .size:           2
        .value_kind:     by_value
      - .offset:         8
        .size:           8
        .value_kind:     by_value
      - .actual_access:  read_only
        .address_space:  global
        .offset:         16
        .size:           8
        .value_kind:     global_buffer
      - .offset:         24
        .size:           8
        .value_kind:     by_value
      - .offset:         32
        .size:           8
        .value_kind:     by_value
      - .offset:         40
        .size:           4
        .value_kind:     by_value
    .group_segment_fixed_size: 0
    .kernarg_segment_align: 8
    .kernarg_segment_size: 44
    .language:       OpenCL C
    .language_version:
      - 2
      - 0
    .max_flat_workgroup_size: 256
    .name:           _ZL22rocblas_sscal_2_kernelILi256EDF16_fDF16_PKPDF16_EviT2_lT3_lli
    .private_segment_fixed_size: 0
    .sgpr_count:     16
    .sgpr_spill_count: 0
    .symbol:         _ZL22rocblas_sscal_2_kernelILi256EDF16_fDF16_PKPDF16_EviT2_lT3_lli.kd
    .uniform_work_group_size: 1
    .uses_dynamic_stack: false
    .vgpr_count:     5
    .vgpr_spill_count: 0
    .wavefront_size: 32
  - .args:
      - .offset:         0
        .size:           4
        .value_kind:     by_value
      - .address_space:  global
        .offset:         8
        .size:           8
        .value_kind:     global_buffer
      - .offset:         16
        .size:           8
        .value_kind:     by_value
      - .address_space:  global
        .offset:         24
        .size:           8
        .value_kind:     global_buffer
      - .offset:         32
        .size:           8
        .value_kind:     by_value
      - .offset:         40
        .size:           4
        .value_kind:     by_value
      - .offset:         48
        .size:           8
        .value_kind:     by_value
      - .offset:         56
        .size:           4
        .value_kind:     by_value
    .group_segment_fixed_size: 0
    .kernarg_segment_align: 8
    .kernarg_segment_size: 60
    .language:       OpenCL C
    .language_version:
      - 2
      - 0
    .max_flat_workgroup_size: 256
    .name:           _ZL19rocblas_scal_kernelIiLi256EDF16_fPKDF16_PKPDF16_EviT3_lT4_lT_li
    .private_segment_fixed_size: 0
    .sgpr_count:     18
    .sgpr_spill_count: 0
    .symbol:         _ZL19rocblas_scal_kernelIiLi256EDF16_fPKDF16_PKPDF16_EviT3_lT4_lT_li.kd
    .uniform_work_group_size: 1
    .uses_dynamic_stack: false
    .vgpr_count:     7
    .vgpr_spill_count: 0
    .wavefront_size: 32
  - .args:
      - .offset:         0
        .size:           4
        .value_kind:     by_value
      - .offset:         4
        .size:           2
        .value_kind:     by_value
      - .offset:         8
        .size:           8
        .value_kind:     by_value
      - .address_space:  global
        .offset:         16
        .size:           8
        .value_kind:     global_buffer
      - .offset:         24
        .size:           8
        .value_kind:     by_value
      - .offset:         32
        .size:           4
        .value_kind:     by_value
      - .offset:         40
        .size:           8
        .value_kind:     by_value
      - .offset:         48
        .size:           4
        .value_kind:     by_value
    .group_segment_fixed_size: 0
    .kernarg_segment_align: 8
    .kernarg_segment_size: 52
    .language:       OpenCL C
    .language_version:
      - 2
      - 0
    .max_flat_workgroup_size: 256
    .name:           _ZL19rocblas_scal_kernelIiLi256EDF16_fDF16_PKPDF16_EviT3_lT4_lT_li
    .private_segment_fixed_size: 0
    .sgpr_count:     14
    .sgpr_spill_count: 0
    .symbol:         _ZL19rocblas_scal_kernelIiLi256EDF16_fDF16_PKPDF16_EviT3_lT4_lT_li.kd
    .uniform_work_group_size: 1
    .uses_dynamic_stack: false
    .vgpr_count:     5
    .vgpr_spill_count: 0
    .wavefront_size: 32
  - .args:
      - .offset:         0
        .size:           4
        .value_kind:     by_value
      - .address_space:  global
        .offset:         8
        .size:           8
        .value_kind:     global_buffer
      - .offset:         16
        .size:           8
        .value_kind:     by_value
      - .address_space:  global
        .offset:         24
        .size:           8
        .value_kind:     global_buffer
      - .offset:         32
        .size:           8
        .value_kind:     by_value
      - .offset:         40
        .size:           8
        .value_kind:     by_value
      - .offset:         48
        .size:           8
        .value_kind:     by_value
      - .offset:         56
        .size:           4
        .value_kind:     by_value
    .group_segment_fixed_size: 0
    .kernarg_segment_align: 8
    .kernarg_segment_size: 60
    .language:       OpenCL C
    .language_version:
      - 2
      - 0
    .max_flat_workgroup_size: 256
    .name:           _ZL19rocblas_scal_kernelIlLi256EDF16_fPKDF16_PKPDF16_EviT3_lT4_lT_li
    .private_segment_fixed_size: 0
    .sgpr_count:     18
    .sgpr_spill_count: 0
    .symbol:         _ZL19rocblas_scal_kernelIlLi256EDF16_fPKDF16_PKPDF16_EviT3_lT4_lT_li.kd
    .uniform_work_group_size: 1
    .uses_dynamic_stack: false
    .vgpr_count:     7
    .vgpr_spill_count: 0
    .wavefront_size: 32
  - .args:
      - .offset:         0
        .size:           4
        .value_kind:     by_value
      - .offset:         4
        .size:           2
        .value_kind:     by_value
      - .offset:         8
        .size:           8
        .value_kind:     by_value
      - .address_space:  global
        .offset:         16
        .size:           8
        .value_kind:     global_buffer
      - .offset:         24
        .size:           8
        .value_kind:     by_value
      - .offset:         32
        .size:           8
        .value_kind:     by_value
      - .offset:         40
        .size:           8
        .value_kind:     by_value
      - .offset:         48
        .size:           4
        .value_kind:     by_value
    .group_segment_fixed_size: 0
    .kernarg_segment_align: 8
    .kernarg_segment_size: 52
    .language:       OpenCL C
    .language_version:
      - 2
      - 0
    .max_flat_workgroup_size: 256
    .name:           _ZL19rocblas_scal_kernelIlLi256EDF16_fDF16_PKPDF16_EviT3_lT4_lT_li
    .private_segment_fixed_size: 0
    .sgpr_count:     14
    .sgpr_spill_count: 0
    .symbol:         _ZL19rocblas_scal_kernelIlLi256EDF16_fDF16_PKPDF16_EviT3_lT4_lT_li.kd
    .uniform_work_group_size: 1
    .uses_dynamic_stack: false
    .vgpr_count:     5
    .vgpr_spill_count: 0
    .wavefront_size: 32
  - .args:
      - .offset:         0
        .size:           4
        .value_kind:     by_value
      - .address_space:  global
        .offset:         8
        .size:           8
        .value_kind:     global_buffer
      - .offset:         16
        .size:           8
        .value_kind:     by_value
      - .actual_access:  read_only
        .address_space:  global
        .offset:         24
        .size:           8
        .value_kind:     global_buffer
      - .offset:         32
        .size:           8
        .value_kind:     by_value
      - .offset:         40
        .size:           8
        .value_kind:     by_value
      - .offset:         48
        .size:           4
        .value_kind:     by_value
    .group_segment_fixed_size: 0
    .kernarg_segment_align: 8
    .kernarg_segment_size: 52
    .language:       OpenCL C
    .language_version:
      - 2
      - 0
    .max_flat_workgroup_size: 256
    .name:           _ZL22rocblas_sscal_2_kernelILi256EDF16_fPKfPKPDF16_EviT2_lT3_lli
    .private_segment_fixed_size: 0
    .sgpr_count:     18
    .sgpr_spill_count: 0
    .symbol:         _ZL22rocblas_sscal_2_kernelILi256EDF16_fPKfPKPDF16_EviT2_lT3_lli.kd
    .uniform_work_group_size: 1
    .uses_dynamic_stack: false
    .vgpr_count:     6
    .vgpr_spill_count: 0
    .wavefront_size: 32
  - .args:
      - .offset:         0
        .size:           4
        .value_kind:     by_value
      - .offset:         4
        .size:           4
        .value_kind:     by_value
      - .offset:         8
        .size:           8
        .value_kind:     by_value
      - .actual_access:  read_only
        .address_space:  global
        .offset:         16
        .size:           8
        .value_kind:     global_buffer
      - .offset:         24
        .size:           8
        .value_kind:     by_value
      - .offset:         32
        .size:           8
        .value_kind:     by_value
      - .offset:         40
        .size:           4
        .value_kind:     by_value
    .group_segment_fixed_size: 0
    .kernarg_segment_align: 8
    .kernarg_segment_size: 44
    .language:       OpenCL C
    .language_version:
      - 2
      - 0
    .max_flat_workgroup_size: 256
    .name:           _ZL22rocblas_sscal_2_kernelILi256EDF16_ffPKPDF16_EviT2_lT3_lli
    .private_segment_fixed_size: 0
    .sgpr_count:     16
    .sgpr_spill_count: 0
    .symbol:         _ZL22rocblas_sscal_2_kernelILi256EDF16_ffPKPDF16_EviT2_lT3_lli.kd
    .uniform_work_group_size: 1
    .uses_dynamic_stack: false
    .vgpr_count:     8
    .vgpr_spill_count: 0
    .wavefront_size: 32
  - .args:
      - .offset:         0
        .size:           4
        .value_kind:     by_value
      - .address_space:  global
        .offset:         8
        .size:           8
        .value_kind:     global_buffer
      - .offset:         16
        .size:           8
        .value_kind:     by_value
      - .address_space:  global
        .offset:         24
        .size:           8
        .value_kind:     global_buffer
      - .offset:         32
        .size:           8
        .value_kind:     by_value
      - .offset:         40
        .size:           4
        .value_kind:     by_value
      - .offset:         48
        .size:           8
        .value_kind:     by_value
      - .offset:         56
        .size:           4
        .value_kind:     by_value
    .group_segment_fixed_size: 0
    .kernarg_segment_align: 8
    .kernarg_segment_size: 60
    .language:       OpenCL C
    .language_version:
      - 2
      - 0
    .max_flat_workgroup_size: 256
    .name:           _ZL19rocblas_scal_kernelIiLi256EDF16_fPKfPKPDF16_EviT3_lT4_lT_li
    .private_segment_fixed_size: 0
    .sgpr_count:     18
    .sgpr_spill_count: 0
    .symbol:         _ZL19rocblas_scal_kernelIiLi256EDF16_fPKfPKPDF16_EviT3_lT4_lT_li.kd
    .uniform_work_group_size: 1
    .uses_dynamic_stack: false
    .vgpr_count:     5
    .vgpr_spill_count: 0
    .wavefront_size: 32
  - .args:
      - .offset:         0
        .size:           4
        .value_kind:     by_value
      - .offset:         4
        .size:           4
        .value_kind:     by_value
      - .offset:         8
        .size:           8
        .value_kind:     by_value
      - .address_space:  global
        .offset:         16
        .size:           8
        .value_kind:     global_buffer
      - .offset:         24
        .size:           8
        .value_kind:     by_value
      - .offset:         32
        .size:           4
        .value_kind:     by_value
      - .offset:         40
        .size:           8
        .value_kind:     by_value
      - .offset:         48
        .size:           4
        .value_kind:     by_value
    .group_segment_fixed_size: 0
    .kernarg_segment_align: 8
    .kernarg_segment_size: 52
    .language:       OpenCL C
    .language_version:
      - 2
      - 0
    .max_flat_workgroup_size: 256
    .name:           _ZL19rocblas_scal_kernelIiLi256EDF16_ffPKPDF16_EviT3_lT4_lT_li
    .private_segment_fixed_size: 0
    .sgpr_count:     14
    .sgpr_spill_count: 0
    .symbol:         _ZL19rocblas_scal_kernelIiLi256EDF16_ffPKPDF16_EviT3_lT4_lT_li.kd
    .uniform_work_group_size: 1
    .uses_dynamic_stack: false
    .vgpr_count:     5
    .vgpr_spill_count: 0
    .wavefront_size: 32
  - .args:
      - .offset:         0
        .size:           4
        .value_kind:     by_value
      - .address_space:  global
        .offset:         8
        .size:           8
        .value_kind:     global_buffer
      - .offset:         16
        .size:           8
        .value_kind:     by_value
      - .address_space:  global
        .offset:         24
        .size:           8
        .value_kind:     global_buffer
      - .offset:         32
        .size:           8
        .value_kind:     by_value
      - .offset:         40
        .size:           8
        .value_kind:     by_value
      - .offset:         48
        .size:           8
        .value_kind:     by_value
      - .offset:         56
        .size:           4
        .value_kind:     by_value
    .group_segment_fixed_size: 0
    .kernarg_segment_align: 8
    .kernarg_segment_size: 60
    .language:       OpenCL C
    .language_version:
      - 2
      - 0
    .max_flat_workgroup_size: 256
    .name:           _ZL19rocblas_scal_kernelIlLi256EDF16_fPKfPKPDF16_EviT3_lT4_lT_li
    .private_segment_fixed_size: 0
    .sgpr_count:     18
    .sgpr_spill_count: 0
    .symbol:         _ZL19rocblas_scal_kernelIlLi256EDF16_fPKfPKPDF16_EviT3_lT4_lT_li.kd
    .uniform_work_group_size: 1
    .uses_dynamic_stack: false
    .vgpr_count:     5
    .vgpr_spill_count: 0
    .wavefront_size: 32
  - .args:
      - .offset:         0
        .size:           4
        .value_kind:     by_value
      - .offset:         4
        .size:           4
        .value_kind:     by_value
      - .offset:         8
        .size:           8
        .value_kind:     by_value
      - .address_space:  global
        .offset:         16
        .size:           8
        .value_kind:     global_buffer
      - .offset:         24
        .size:           8
        .value_kind:     by_value
      - .offset:         32
        .size:           8
        .value_kind:     by_value
      - .offset:         40
        .size:           8
        .value_kind:     by_value
      - .offset:         48
        .size:           4
        .value_kind:     by_value
    .group_segment_fixed_size: 0
    .kernarg_segment_align: 8
    .kernarg_segment_size: 52
    .language:       OpenCL C
    .language_version:
      - 2
      - 0
    .max_flat_workgroup_size: 256
    .name:           _ZL19rocblas_scal_kernelIlLi256EDF16_ffPKPDF16_EviT3_lT4_lT_li
    .private_segment_fixed_size: 0
    .sgpr_count:     14
    .sgpr_spill_count: 0
    .symbol:         _ZL19rocblas_scal_kernelIlLi256EDF16_ffPKPDF16_EviT3_lT4_lT_li.kd
    .uniform_work_group_size: 1
    .uses_dynamic_stack: false
    .vgpr_count:     5
    .vgpr_spill_count: 0
    .wavefront_size: 32
  - .args:
      - .offset:         0
        .size:           4
        .value_kind:     by_value
      - .address_space:  global
        .offset:         8
        .size:           8
        .value_kind:     global_buffer
      - .offset:         16
        .size:           8
        .value_kind:     by_value
      - .actual_access:  read_only
        .address_space:  global
        .offset:         24
        .size:           8
        .value_kind:     global_buffer
      - .offset:         32
        .size:           8
        .value_kind:     by_value
      - .offset:         40
        .size:           8
        .value_kind:     by_value
      - .offset:         48
        .size:           4
        .value_kind:     by_value
    .group_segment_fixed_size: 0
    .kernarg_segment_align: 8
    .kernarg_segment_size: 52
    .language:       OpenCL C
    .language_version:
      - 2
      - 0
    .max_flat_workgroup_size: 256
    .name:           _ZL22rocblas_sscal_2_kernelILi256E16rocblas_bfloat16fPKS0_PKPS0_EviT2_lT3_lli
    .private_segment_fixed_size: 0
    .sgpr_count:     18
    .sgpr_spill_count: 0
    .symbol:         _ZL22rocblas_sscal_2_kernelILi256E16rocblas_bfloat16fPKS0_PKPS0_EviT2_lT3_lli.kd
    .uniform_work_group_size: 1
    .uses_dynamic_stack: false
    .vgpr_count:     8
    .vgpr_spill_count: 0
    .wavefront_size: 32
  - .args:
      - .offset:         0
        .size:           4
        .value_kind:     by_value
      - .offset:         4
        .size:           2
        .value_kind:     by_value
      - .offset:         8
        .size:           8
        .value_kind:     by_value
      - .actual_access:  read_only
        .address_space:  global
        .offset:         16
        .size:           8
        .value_kind:     global_buffer
      - .offset:         24
        .size:           8
        .value_kind:     by_value
      - .offset:         32
        .size:           8
        .value_kind:     by_value
      - .offset:         40
        .size:           4
        .value_kind:     by_value
    .group_segment_fixed_size: 0
    .kernarg_segment_align: 8
    .kernarg_segment_size: 44
    .language:       OpenCL C
    .language_version:
      - 2
      - 0
    .max_flat_workgroup_size: 256
    .name:           _ZL22rocblas_sscal_2_kernelILi256E16rocblas_bfloat16fS0_PKPS0_EviT2_lT3_lli
    .private_segment_fixed_size: 0
    .sgpr_count:     16
    .sgpr_spill_count: 0
    .symbol:         _ZL22rocblas_sscal_2_kernelILi256E16rocblas_bfloat16fS0_PKPS0_EviT2_lT3_lli.kd
    .uniform_work_group_size: 1
    .uses_dynamic_stack: false
    .vgpr_count:     7
    .vgpr_spill_count: 0
    .wavefront_size: 32
  - .args:
      - .offset:         0
        .size:           4
        .value_kind:     by_value
      - .address_space:  global
        .offset:         8
        .size:           8
        .value_kind:     global_buffer
      - .offset:         16
        .size:           8
        .value_kind:     by_value
      - .address_space:  global
        .offset:         24
        .size:           8
        .value_kind:     global_buffer
      - .offset:         32
        .size:           8
        .value_kind:     by_value
      - .offset:         40
        .size:           4
        .value_kind:     by_value
      - .offset:         48
        .size:           8
        .value_kind:     by_value
      - .offset:         56
        .size:           4
        .value_kind:     by_value
    .group_segment_fixed_size: 0
    .kernarg_segment_align: 8
    .kernarg_segment_size: 60
    .language:       OpenCL C
    .language_version:
      - 2
      - 0
    .max_flat_workgroup_size: 256
    .name:           _ZL19rocblas_scal_kernelIiLi256E16rocblas_bfloat16fPKS0_PKPS0_EviT3_lT4_lT_li
    .private_segment_fixed_size: 0
    .sgpr_count:     18
    .sgpr_spill_count: 0
    .symbol:         _ZL19rocblas_scal_kernelIiLi256E16rocblas_bfloat16fPKS0_PKPS0_EviT3_lT4_lT_li.kd
    .uniform_work_group_size: 1
    .uses_dynamic_stack: false
    .vgpr_count:     8
    .vgpr_spill_count: 0
    .wavefront_size: 32
  - .args:
      - .offset:         0
        .size:           4
        .value_kind:     by_value
      - .offset:         4
        .size:           2
        .value_kind:     by_value
      - .offset:         8
        .size:           8
        .value_kind:     by_value
      - .address_space:  global
        .offset:         16
        .size:           8
        .value_kind:     global_buffer
      - .offset:         24
        .size:           8
        .value_kind:     by_value
      - .offset:         32
        .size:           4
        .value_kind:     by_value
      - .offset:         40
        .size:           8
        .value_kind:     by_value
      - .offset:         48
        .size:           4
        .value_kind:     by_value
    .group_segment_fixed_size: 0
    .kernarg_segment_align: 8
    .kernarg_segment_size: 52
    .language:       OpenCL C
    .language_version:
      - 2
      - 0
    .max_flat_workgroup_size: 256
    .name:           _ZL19rocblas_scal_kernelIiLi256E16rocblas_bfloat16fS0_PKPS0_EviT3_lT4_lT_li
    .private_segment_fixed_size: 0
    .sgpr_count:     14
    .sgpr_spill_count: 0
    .symbol:         _ZL19rocblas_scal_kernelIiLi256E16rocblas_bfloat16fS0_PKPS0_EviT3_lT4_lT_li.kd
    .uniform_work_group_size: 1
    .uses_dynamic_stack: false
    .vgpr_count:     7
    .vgpr_spill_count: 0
    .wavefront_size: 32
  - .args:
      - .offset:         0
        .size:           4
        .value_kind:     by_value
      - .address_space:  global
        .offset:         8
        .size:           8
        .value_kind:     global_buffer
      - .offset:         16
        .size:           8
        .value_kind:     by_value
      - .address_space:  global
        .offset:         24
        .size:           8
        .value_kind:     global_buffer
      - .offset:         32
        .size:           8
        .value_kind:     by_value
      - .offset:         40
        .size:           8
        .value_kind:     by_value
      - .offset:         48
        .size:           8
        .value_kind:     by_value
      - .offset:         56
        .size:           4
        .value_kind:     by_value
    .group_segment_fixed_size: 0
    .kernarg_segment_align: 8
    .kernarg_segment_size: 60
    .language:       OpenCL C
    .language_version:
      - 2
      - 0
    .max_flat_workgroup_size: 256
    .name:           _ZL19rocblas_scal_kernelIlLi256E16rocblas_bfloat16fPKS0_PKPS0_EviT3_lT4_lT_li
    .private_segment_fixed_size: 0
    .sgpr_count:     18
    .sgpr_spill_count: 0
    .symbol:         _ZL19rocblas_scal_kernelIlLi256E16rocblas_bfloat16fPKS0_PKPS0_EviT3_lT4_lT_li.kd
    .uniform_work_group_size: 1
    .uses_dynamic_stack: false
    .vgpr_count:     8
    .vgpr_spill_count: 0
    .wavefront_size: 32
  - .args:
      - .offset:         0
        .size:           4
        .value_kind:     by_value
      - .offset:         4
        .size:           2
        .value_kind:     by_value
      - .offset:         8
        .size:           8
        .value_kind:     by_value
      - .address_space:  global
        .offset:         16
        .size:           8
        .value_kind:     global_buffer
      - .offset:         24
        .size:           8
        .value_kind:     by_value
      - .offset:         32
        .size:           8
        .value_kind:     by_value
      - .offset:         40
        .size:           8
        .value_kind:     by_value
      - .offset:         48
        .size:           4
        .value_kind:     by_value
    .group_segment_fixed_size: 0
    .kernarg_segment_align: 8
    .kernarg_segment_size: 52
    .language:       OpenCL C
    .language_version:
      - 2
      - 0
    .max_flat_workgroup_size: 256
    .name:           _ZL19rocblas_scal_kernelIlLi256E16rocblas_bfloat16fS0_PKPS0_EviT3_lT4_lT_li
    .private_segment_fixed_size: 0
    .sgpr_count:     14
    .sgpr_spill_count: 0
    .symbol:         _ZL19rocblas_scal_kernelIlLi256E16rocblas_bfloat16fS0_PKPS0_EviT3_lT4_lT_li.kd
    .uniform_work_group_size: 1
    .uses_dynamic_stack: false
    .vgpr_count:     7
    .vgpr_spill_count: 0
    .wavefront_size: 32
  - .args:
      - .offset:         0
        .size:           4
        .value_kind:     by_value
      - .address_space:  global
        .offset:         8
        .size:           8
        .value_kind:     global_buffer
      - .offset:         16
        .size:           8
        .value_kind:     by_value
      - .actual_access:  read_only
        .address_space:  global
        .offset:         24
        .size:           8
        .value_kind:     global_buffer
      - .offset:         32
        .size:           8
        .value_kind:     by_value
      - .offset:         40
        .size:           8
        .value_kind:     by_value
      - .offset:         48
        .size:           4
        .value_kind:     by_value
    .group_segment_fixed_size: 0
    .kernarg_segment_align: 8
    .kernarg_segment_size: 52
    .language:       OpenCL C
    .language_version:
      - 2
      - 0
    .max_flat_workgroup_size: 256
    .name:           _ZL22rocblas_sscal_2_kernelILi256E16rocblas_bfloat16fPKfPKPS0_EviT2_lT3_lli
    .private_segment_fixed_size: 0
    .sgpr_count:     18
    .sgpr_spill_count: 0
    .symbol:         _ZL22rocblas_sscal_2_kernelILi256E16rocblas_bfloat16fPKfPKPS0_EviT2_lT3_lli.kd
    .uniform_work_group_size: 1
    .uses_dynamic_stack: false
    .vgpr_count:     7
    .vgpr_spill_count: 0
    .wavefront_size: 32
  - .args:
      - .offset:         0
        .size:           4
        .value_kind:     by_value
      - .offset:         4
        .size:           4
        .value_kind:     by_value
      - .offset:         8
        .size:           8
        .value_kind:     by_value
      - .actual_access:  read_only
        .address_space:  global
        .offset:         16
        .size:           8
        .value_kind:     global_buffer
      - .offset:         24
        .size:           8
        .value_kind:     by_value
      - .offset:         32
        .size:           8
        .value_kind:     by_value
      - .offset:         40
        .size:           4
        .value_kind:     by_value
    .group_segment_fixed_size: 0
    .kernarg_segment_align: 8
    .kernarg_segment_size: 44
    .language:       OpenCL C
    .language_version:
      - 2
      - 0
    .max_flat_workgroup_size: 256
    .name:           _ZL22rocblas_sscal_2_kernelILi256E16rocblas_bfloat16ffPKPS0_EviT2_lT3_lli
    .private_segment_fixed_size: 0
    .sgpr_count:     14
    .sgpr_spill_count: 0
    .symbol:         _ZL22rocblas_sscal_2_kernelILi256E16rocblas_bfloat16ffPKPS0_EviT2_lT3_lli.kd
    .uniform_work_group_size: 1
    .uses_dynamic_stack: false
    .vgpr_count:     7
    .vgpr_spill_count: 0
    .wavefront_size: 32
  - .args:
      - .offset:         0
        .size:           4
        .value_kind:     by_value
      - .address_space:  global
        .offset:         8
        .size:           8
        .value_kind:     global_buffer
      - .offset:         16
        .size:           8
        .value_kind:     by_value
      - .address_space:  global
        .offset:         24
        .size:           8
        .value_kind:     global_buffer
      - .offset:         32
        .size:           8
        .value_kind:     by_value
      - .offset:         40
        .size:           4
        .value_kind:     by_value
      - .offset:         48
        .size:           8
        .value_kind:     by_value
      - .offset:         56
        .size:           4
        .value_kind:     by_value
    .group_segment_fixed_size: 0
    .kernarg_segment_align: 8
    .kernarg_segment_size: 60
    .language:       OpenCL C
    .language_version:
      - 2
      - 0
    .max_flat_workgroup_size: 256
    .name:           _ZL19rocblas_scal_kernelIiLi256E16rocblas_bfloat16fPKfPKPS0_EviT3_lT4_lT_li
    .private_segment_fixed_size: 0
    .sgpr_count:     18
    .sgpr_spill_count: 0
    .symbol:         _ZL19rocblas_scal_kernelIiLi256E16rocblas_bfloat16fPKfPKPS0_EviT3_lT4_lT_li.kd
    .uniform_work_group_size: 1
    .uses_dynamic_stack: false
    .vgpr_count:     7
    .vgpr_spill_count: 0
    .wavefront_size: 32
  - .args:
      - .offset:         0
        .size:           4
        .value_kind:     by_value
      - .offset:         4
        .size:           4
        .value_kind:     by_value
      - .offset:         8
        .size:           8
        .value_kind:     by_value
      - .address_space:  global
        .offset:         16
        .size:           8
        .value_kind:     global_buffer
      - .offset:         24
        .size:           8
        .value_kind:     by_value
      - .offset:         32
        .size:           4
        .value_kind:     by_value
      - .offset:         40
        .size:           8
        .value_kind:     by_value
      - .offset:         48
        .size:           4
        .value_kind:     by_value
    .group_segment_fixed_size: 0
    .kernarg_segment_align: 8
    .kernarg_segment_size: 52
    .language:       OpenCL C
    .language_version:
      - 2
      - 0
    .max_flat_workgroup_size: 256
    .name:           _ZL19rocblas_scal_kernelIiLi256E16rocblas_bfloat16ffPKPS0_EviT3_lT4_lT_li
    .private_segment_fixed_size: 0
    .sgpr_count:     14
    .sgpr_spill_count: 0
    .symbol:         _ZL19rocblas_scal_kernelIiLi256E16rocblas_bfloat16ffPKPS0_EviT3_lT4_lT_li.kd
    .uniform_work_group_size: 1
    .uses_dynamic_stack: false
    .vgpr_count:     7
    .vgpr_spill_count: 0
    .wavefront_size: 32
  - .args:
      - .offset:         0
        .size:           4
        .value_kind:     by_value
      - .address_space:  global
        .offset:         8
        .size:           8
        .value_kind:     global_buffer
      - .offset:         16
        .size:           8
        .value_kind:     by_value
      - .address_space:  global
        .offset:         24
        .size:           8
        .value_kind:     global_buffer
      - .offset:         32
        .size:           8
        .value_kind:     by_value
      - .offset:         40
        .size:           8
        .value_kind:     by_value
      - .offset:         48
        .size:           8
        .value_kind:     by_value
      - .offset:         56
        .size:           4
        .value_kind:     by_value
    .group_segment_fixed_size: 0
    .kernarg_segment_align: 8
    .kernarg_segment_size: 60
    .language:       OpenCL C
    .language_version:
      - 2
      - 0
    .max_flat_workgroup_size: 256
    .name:           _ZL19rocblas_scal_kernelIlLi256E16rocblas_bfloat16fPKfPKPS0_EviT3_lT4_lT_li
    .private_segment_fixed_size: 0
    .sgpr_count:     18
    .sgpr_spill_count: 0
    .symbol:         _ZL19rocblas_scal_kernelIlLi256E16rocblas_bfloat16fPKfPKPS0_EviT3_lT4_lT_li.kd
    .uniform_work_group_size: 1
    .uses_dynamic_stack: false
    .vgpr_count:     7
    .vgpr_spill_count: 0
    .wavefront_size: 32
  - .args:
      - .offset:         0
        .size:           4
        .value_kind:     by_value
      - .offset:         4
        .size:           4
        .value_kind:     by_value
      - .offset:         8
        .size:           8
        .value_kind:     by_value
      - .address_space:  global
        .offset:         16
        .size:           8
        .value_kind:     global_buffer
      - .offset:         24
        .size:           8
        .value_kind:     by_value
      - .offset:         32
        .size:           8
        .value_kind:     by_value
      - .offset:         40
        .size:           8
        .value_kind:     by_value
      - .offset:         48
        .size:           4
        .value_kind:     by_value
    .group_segment_fixed_size: 0
    .kernarg_segment_align: 8
    .kernarg_segment_size: 52
    .language:       OpenCL C
    .language_version:
      - 2
      - 0
    .max_flat_workgroup_size: 256
    .name:           _ZL19rocblas_scal_kernelIlLi256E16rocblas_bfloat16ffPKPS0_EviT3_lT4_lT_li
    .private_segment_fixed_size: 0
    .sgpr_count:     14
    .sgpr_spill_count: 0
    .symbol:         _ZL19rocblas_scal_kernelIlLi256E16rocblas_bfloat16ffPKPS0_EviT3_lT4_lT_li.kd
    .uniform_work_group_size: 1
    .uses_dynamic_stack: false
    .vgpr_count:     7
    .vgpr_spill_count: 0
    .wavefront_size: 32
  - .args:
      - .offset:         0
        .size:           4
        .value_kind:     by_value
      - .address_space:  global
        .offset:         8
        .size:           8
        .value_kind:     global_buffer
      - .offset:         16
        .size:           8
        .value_kind:     by_value
      - .address_space:  global
        .offset:         24
        .size:           8
        .value_kind:     global_buffer
      - .offset:         32
        .size:           8
        .value_kind:     by_value
      - .offset:         40
        .size:           8
        .value_kind:     by_value
      - .offset:         48
        .size:           4
        .value_kind:     by_value
    .group_segment_fixed_size: 0
    .kernarg_segment_align: 8
    .kernarg_segment_size: 52
    .language:       OpenCL C
    .language_version:
      - 2
      - 0
    .max_flat_workgroup_size: 256
    .name:           _ZL22rocblas_sscal_2_kernelILi256EddPKdPdEviT2_lT3_lli
    .private_segment_fixed_size: 0
    .sgpr_count:     20
    .sgpr_spill_count: 0
    .symbol:         _ZL22rocblas_sscal_2_kernelILi256EddPKdPdEviT2_lT3_lli.kd
    .uniform_work_group_size: 1
    .uses_dynamic_stack: false
    .vgpr_count:     8
    .vgpr_spill_count: 0
    .wavefront_size: 32
  - .args:
      - .offset:         0
        .size:           4
        .value_kind:     by_value
      - .offset:         8
        .size:           8
        .value_kind:     by_value
      - .offset:         16
        .size:           8
        .value_kind:     by_value
      - .address_space:  global
        .offset:         24
        .size:           8
        .value_kind:     global_buffer
      - .offset:         32
        .size:           8
        .value_kind:     by_value
      - .offset:         40
        .size:           8
        .value_kind:     by_value
      - .offset:         48
        .size:           4
        .value_kind:     by_value
    .group_segment_fixed_size: 0
    .kernarg_segment_align: 8
    .kernarg_segment_size: 52
    .language:       OpenCL C
    .language_version:
      - 2
      - 0
    .max_flat_workgroup_size: 256
    .name:           _ZL22rocblas_sscal_2_kernelILi256EdddPdEviT2_lT3_lli
    .private_segment_fixed_size: 0
    .sgpr_count:     18
    .sgpr_spill_count: 0
    .symbol:         _ZL22rocblas_sscal_2_kernelILi256EdddPdEviT2_lT3_lli.kd
    .uniform_work_group_size: 1
    .uses_dynamic_stack: false
    .vgpr_count:     8
    .vgpr_spill_count: 0
    .wavefront_size: 32
  - .args:
      - .offset:         0
        .size:           4
        .value_kind:     by_value
      - .address_space:  global
        .offset:         8
        .size:           8
        .value_kind:     global_buffer
      - .offset:         16
        .size:           8
        .value_kind:     by_value
      - .address_space:  global
        .offset:         24
        .size:           8
        .value_kind:     global_buffer
      - .offset:         32
        .size:           8
        .value_kind:     by_value
      - .offset:         40
        .size:           4
        .value_kind:     by_value
      - .offset:         48
        .size:           8
        .value_kind:     by_value
      - .offset:         56
        .size:           4
        .value_kind:     by_value
    .group_segment_fixed_size: 0
    .kernarg_segment_align: 8
    .kernarg_segment_size: 60
    .language:       OpenCL C
    .language_version:
      - 2
      - 0
    .max_flat_workgroup_size: 256
    .name:           _ZL19rocblas_scal_kernelIiLi256EddPKdPdEviT3_lT4_lT_li
    .private_segment_fixed_size: 0
    .sgpr_count:     21
    .sgpr_spill_count: 0
    .symbol:         _ZL19rocblas_scal_kernelIiLi256EddPKdPdEviT3_lT4_lT_li.kd
    .uniform_work_group_size: 1
    .uses_dynamic_stack: false
    .vgpr_count:     10
    .vgpr_spill_count: 0
    .wavefront_size: 32
  - .args:
      - .offset:         0
        .size:           4
        .value_kind:     by_value
      - .offset:         8
        .size:           8
        .value_kind:     by_value
      - .offset:         16
        .size:           8
        .value_kind:     by_value
      - .address_space:  global
        .offset:         24
        .size:           8
        .value_kind:     global_buffer
      - .offset:         32
        .size:           8
        .value_kind:     by_value
      - .offset:         40
        .size:           4
        .value_kind:     by_value
      - .offset:         48
        .size:           8
        .value_kind:     by_value
      - .offset:         56
        .size:           4
        .value_kind:     by_value
    .group_segment_fixed_size: 0
    .kernarg_segment_align: 8
    .kernarg_segment_size: 60
    .language:       OpenCL C
    .language_version:
      - 2
      - 0
    .max_flat_workgroup_size: 256
    .name:           _ZL19rocblas_scal_kernelIiLi256EdddPdEviT3_lT4_lT_li
    .private_segment_fixed_size: 0
    .sgpr_count:     18
    .sgpr_spill_count: 0
    .symbol:         _ZL19rocblas_scal_kernelIiLi256EdddPdEviT3_lT4_lT_li.kd
    .uniform_work_group_size: 1
    .uses_dynamic_stack: false
    .vgpr_count:     6
    .vgpr_spill_count: 0
    .wavefront_size: 32
  - .args:
      - .offset:         0
        .size:           4
        .value_kind:     by_value
      - .address_space:  global
        .offset:         8
        .size:           8
        .value_kind:     global_buffer
      - .offset:         16
        .size:           8
        .value_kind:     by_value
      - .address_space:  global
        .offset:         24
        .size:           8
        .value_kind:     global_buffer
      - .offset:         32
        .size:           8
        .value_kind:     by_value
      - .offset:         40
        .size:           8
        .value_kind:     by_value
      - .offset:         48
        .size:           8
        .value_kind:     by_value
      - .offset:         56
        .size:           4
        .value_kind:     by_value
    .group_segment_fixed_size: 0
    .kernarg_segment_align: 8
    .kernarg_segment_size: 60
    .language:       OpenCL C
    .language_version:
      - 2
      - 0
    .max_flat_workgroup_size: 256
    .name:           _ZL19rocblas_scal_kernelIlLi256EddPKdPdEviT3_lT4_lT_li
    .private_segment_fixed_size: 0
    .sgpr_count:     22
    .sgpr_spill_count: 0
    .symbol:         _ZL19rocblas_scal_kernelIlLi256EddPKdPdEviT3_lT4_lT_li.kd
    .uniform_work_group_size: 1
    .uses_dynamic_stack: false
    .vgpr_count:     10
    .vgpr_spill_count: 0
    .wavefront_size: 32
  - .args:
      - .offset:         0
        .size:           4
        .value_kind:     by_value
      - .offset:         8
        .size:           8
        .value_kind:     by_value
      - .offset:         16
        .size:           8
        .value_kind:     by_value
      - .address_space:  global
        .offset:         24
        .size:           8
        .value_kind:     global_buffer
      - .offset:         32
        .size:           8
        .value_kind:     by_value
      - .offset:         40
        .size:           8
        .value_kind:     by_value
      - .offset:         48
        .size:           8
        .value_kind:     by_value
      - .offset:         56
        .size:           4
        .value_kind:     by_value
    .group_segment_fixed_size: 0
    .kernarg_segment_align: 8
    .kernarg_segment_size: 60
    .language:       OpenCL C
    .language_version:
      - 2
      - 0
    .max_flat_workgroup_size: 256
    .name:           _ZL19rocblas_scal_kernelIlLi256EdddPdEviT3_lT4_lT_li
    .private_segment_fixed_size: 0
    .sgpr_count:     20
    .sgpr_spill_count: 0
    .symbol:         _ZL19rocblas_scal_kernelIlLi256EdddPdEviT3_lT4_lT_li.kd
    .uniform_work_group_size: 1
    .uses_dynamic_stack: false
    .vgpr_count:     6
    .vgpr_spill_count: 0
    .wavefront_size: 32
  - .args:
      - .offset:         0
        .size:           4
        .value_kind:     by_value
      - .address_space:  global
        .offset:         8
        .size:           8
        .value_kind:     global_buffer
      - .offset:         16
        .size:           8
        .value_kind:     by_value
      - .actual_access:  read_only
        .address_space:  global
        .offset:         24
        .size:           8
        .value_kind:     global_buffer
      - .offset:         32
        .size:           8
        .value_kind:     by_value
      - .offset:         40
        .size:           8
        .value_kind:     by_value
      - .offset:         48
        .size:           4
        .value_kind:     by_value
    .group_segment_fixed_size: 0
    .kernarg_segment_align: 8
    .kernarg_segment_size: 52
    .language:       OpenCL C
    .language_version:
      - 2
      - 0
    .max_flat_workgroup_size: 256
    .name:           _ZL22rocblas_sscal_2_kernelILi256EddPKdPKPdEviT2_lT3_lli
    .private_segment_fixed_size: 0
    .sgpr_count:     18
    .sgpr_spill_count: 0
    .symbol:         _ZL22rocblas_sscal_2_kernelILi256EddPKdPKPdEviT2_lT3_lli.kd
    .uniform_work_group_size: 1
    .uses_dynamic_stack: false
    .vgpr_count:     10
    .vgpr_spill_count: 0
    .wavefront_size: 32
  - .args:
      - .offset:         0
        .size:           4
        .value_kind:     by_value
      - .offset:         8
        .size:           8
        .value_kind:     by_value
      - .offset:         16
        .size:           8
        .value_kind:     by_value
      - .actual_access:  read_only
        .address_space:  global
        .offset:         24
        .size:           8
        .value_kind:     global_buffer
      - .offset:         32
        .size:           8
        .value_kind:     by_value
      - .offset:         40
        .size:           8
        .value_kind:     by_value
      - .offset:         48
        .size:           4
        .value_kind:     by_value
    .group_segment_fixed_size: 0
    .kernarg_segment_align: 8
    .kernarg_segment_size: 52
    .language:       OpenCL C
    .language_version:
      - 2
      - 0
    .max_flat_workgroup_size: 256
    .name:           _ZL22rocblas_sscal_2_kernelILi256EdddPKPdEviT2_lT3_lli
    .private_segment_fixed_size: 0
    .sgpr_count:     16
    .sgpr_spill_count: 0
    .symbol:         _ZL22rocblas_sscal_2_kernelILi256EdddPKPdEviT2_lT3_lli.kd
    .uniform_work_group_size: 1
    .uses_dynamic_stack: false
    .vgpr_count:     8
    .vgpr_spill_count: 0
    .wavefront_size: 32
  - .args:
      - .offset:         0
        .size:           4
        .value_kind:     by_value
      - .address_space:  global
        .offset:         8
        .size:           8
        .value_kind:     global_buffer
      - .offset:         16
        .size:           8
        .value_kind:     by_value
      - .address_space:  global
        .offset:         24
        .size:           8
        .value_kind:     global_buffer
      - .offset:         32
        .size:           8
        .value_kind:     by_value
      - .offset:         40
        .size:           4
        .value_kind:     by_value
      - .offset:         48
        .size:           8
        .value_kind:     by_value
      - .offset:         56
        .size:           4
        .value_kind:     by_value
    .group_segment_fixed_size: 0
    .kernarg_segment_align: 8
    .kernarg_segment_size: 60
    .language:       OpenCL C
    .language_version:
      - 2
      - 0
    .max_flat_workgroup_size: 256
    .name:           _ZL19rocblas_scal_kernelIiLi256EddPKdPKPdEviT3_lT4_lT_li
    .private_segment_fixed_size: 0
    .sgpr_count:     18
    .sgpr_spill_count: 0
    .symbol:         _ZL19rocblas_scal_kernelIiLi256EddPKdPKPdEviT3_lT4_lT_li.kd
    .uniform_work_group_size: 1
    .uses_dynamic_stack: false
    .vgpr_count:     10
    .vgpr_spill_count: 0
    .wavefront_size: 32
  - .args:
      - .offset:         0
        .size:           4
        .value_kind:     by_value
      - .offset:         8
        .size:           8
        .value_kind:     by_value
      - .offset:         16
        .size:           8
        .value_kind:     by_value
      - .address_space:  global
        .offset:         24
        .size:           8
        .value_kind:     global_buffer
      - .offset:         32
        .size:           8
        .value_kind:     by_value
      - .offset:         40
        .size:           4
        .value_kind:     by_value
      - .offset:         48
        .size:           8
        .value_kind:     by_value
      - .offset:         56
        .size:           4
        .value_kind:     by_value
    .group_segment_fixed_size: 0
    .kernarg_segment_align: 8
    .kernarg_segment_size: 60
    .language:       OpenCL C
    .language_version:
      - 2
      - 0
    .max_flat_workgroup_size: 256
    .name:           _ZL19rocblas_scal_kernelIiLi256EdddPKPdEviT3_lT4_lT_li
    .private_segment_fixed_size: 0
    .sgpr_count:     16
    .sgpr_spill_count: 0
    .symbol:         _ZL19rocblas_scal_kernelIiLi256EdddPKPdEviT3_lT4_lT_li.kd
    .uniform_work_group_size: 1
    .uses_dynamic_stack: false
    .vgpr_count:     6
    .vgpr_spill_count: 0
    .wavefront_size: 32
  - .args:
      - .offset:         0
        .size:           4
        .value_kind:     by_value
      - .address_space:  global
        .offset:         8
        .size:           8
        .value_kind:     global_buffer
      - .offset:         16
        .size:           8
        .value_kind:     by_value
      - .address_space:  global
        .offset:         24
        .size:           8
        .value_kind:     global_buffer
      - .offset:         32
        .size:           8
        .value_kind:     by_value
      - .offset:         40
        .size:           8
        .value_kind:     by_value
      - .offset:         48
        .size:           8
        .value_kind:     by_value
      - .offset:         56
        .size:           4
        .value_kind:     by_value
    .group_segment_fixed_size: 0
    .kernarg_segment_align: 8
    .kernarg_segment_size: 60
    .language:       OpenCL C
    .language_version:
      - 2
      - 0
    .max_flat_workgroup_size: 256
    .name:           _ZL19rocblas_scal_kernelIlLi256EddPKdPKPdEviT3_lT4_lT_li
    .private_segment_fixed_size: 0
    .sgpr_count:     18
    .sgpr_spill_count: 0
    .symbol:         _ZL19rocblas_scal_kernelIlLi256EddPKdPKPdEviT3_lT4_lT_li.kd
    .uniform_work_group_size: 1
    .uses_dynamic_stack: false
    .vgpr_count:     10
    .vgpr_spill_count: 0
    .wavefront_size: 32
  - .args:
      - .offset:         0
        .size:           4
        .value_kind:     by_value
      - .offset:         8
        .size:           8
        .value_kind:     by_value
      - .offset:         16
        .size:           8
        .value_kind:     by_value
      - .address_space:  global
        .offset:         24
        .size:           8
        .value_kind:     global_buffer
      - .offset:         32
        .size:           8
        .value_kind:     by_value
      - .offset:         40
        .size:           8
        .value_kind:     by_value
      - .offset:         48
        .size:           8
        .value_kind:     by_value
      - .offset:         56
        .size:           4
        .value_kind:     by_value
    .group_segment_fixed_size: 0
    .kernarg_segment_align: 8
    .kernarg_segment_size: 60
    .language:       OpenCL C
    .language_version:
      - 2
      - 0
    .max_flat_workgroup_size: 256
    .name:           _ZL19rocblas_scal_kernelIlLi256EdddPKPdEviT3_lT4_lT_li
    .private_segment_fixed_size: 0
    .sgpr_count:     16
    .sgpr_spill_count: 0
    .symbol:         _ZL19rocblas_scal_kernelIlLi256EdddPKPdEviT3_lT4_lT_li.kd
    .uniform_work_group_size: 1
    .uses_dynamic_stack: false
    .vgpr_count:     6
    .vgpr_spill_count: 0
    .wavefront_size: 32
  - .args:
      - .offset:         0
        .size:           4
        .value_kind:     by_value
      - .address_space:  global
        .offset:         8
        .size:           8
        .value_kind:     global_buffer
      - .offset:         16
        .size:           8
        .value_kind:     by_value
      - .address_space:  global
        .offset:         24
        .size:           8
        .value_kind:     global_buffer
      - .offset:         32
        .size:           8
        .value_kind:     by_value
      - .offset:         40
        .size:           8
        .value_kind:     by_value
      - .offset:         48
        .size:           4
        .value_kind:     by_value
    .group_segment_fixed_size: 0
    .kernarg_segment_align: 8
    .kernarg_segment_size: 52
    .language:       OpenCL C
    .language_version:
      - 2
      - 0
    .max_flat_workgroup_size: 256
    .name:           _ZL22rocblas_sscal_2_kernelILi256E19rocblas_complex_numIfES1_PKS1_PS1_EviT2_lT3_lli
    .private_segment_fixed_size: 0
    .sgpr_count:     20
    .sgpr_spill_count: 0
    .symbol:         _ZL22rocblas_sscal_2_kernelILi256E19rocblas_complex_numIfES1_PKS1_PS1_EviT2_lT3_lli.kd
    .uniform_work_group_size: 1
    .uses_dynamic_stack: false
    .vgpr_count:     18
    .vgpr_spill_count: 0
    .wavefront_size: 32
  - .args:
      - .offset:         0
        .size:           4
        .value_kind:     by_value
      - .offset:         4
        .size:           8
        .value_kind:     by_value
      - .offset:         16
        .size:           8
        .value_kind:     by_value
      - .address_space:  global
        .offset:         24
        .size:           8
        .value_kind:     global_buffer
      - .offset:         32
        .size:           8
        .value_kind:     by_value
      - .offset:         40
        .size:           8
        .value_kind:     by_value
      - .offset:         48
        .size:           4
        .value_kind:     by_value
    .group_segment_fixed_size: 0
    .kernarg_segment_align: 8
    .kernarg_segment_size: 52
    .language:       OpenCL C
    .language_version:
      - 2
      - 0
    .max_flat_workgroup_size: 256
    .name:           _ZL22rocblas_sscal_2_kernelILi256E19rocblas_complex_numIfES1_S1_PS1_EviT2_lT3_lli
    .private_segment_fixed_size: 0
    .sgpr_count:     20
    .sgpr_spill_count: 0
    .symbol:         _ZL22rocblas_sscal_2_kernelILi256E19rocblas_complex_numIfES1_S1_PS1_EviT2_lT3_lli.kd
    .uniform_work_group_size: 1
    .uses_dynamic_stack: false
    .vgpr_count:     18
    .vgpr_spill_count: 0
    .wavefront_size: 32
  - .args:
      - .offset:         0
        .size:           4
        .value_kind:     by_value
      - .address_space:  global
        .offset:         8
        .size:           8
        .value_kind:     global_buffer
      - .offset:         16
        .size:           8
        .value_kind:     by_value
      - .address_space:  global
        .offset:         24
        .size:           8
        .value_kind:     global_buffer
      - .offset:         32
        .size:           8
        .value_kind:     by_value
      - .offset:         40
        .size:           4
        .value_kind:     by_value
      - .offset:         48
        .size:           8
        .value_kind:     by_value
      - .offset:         56
        .size:           4
        .value_kind:     by_value
    .group_segment_fixed_size: 0
    .kernarg_segment_align: 8
    .kernarg_segment_size: 60
    .language:       OpenCL C
    .language_version:
      - 2
      - 0
    .max_flat_workgroup_size: 256
    .name:           _ZL19rocblas_scal_kernelIiLi256E19rocblas_complex_numIfES1_PKS1_PS1_EviT3_lT4_lT_li
    .private_segment_fixed_size: 0
    .sgpr_count:     21
    .sgpr_spill_count: 0
    .symbol:         _ZL19rocblas_scal_kernelIiLi256E19rocblas_complex_numIfES1_PKS1_PS1_EviT3_lT4_lT_li.kd
    .uniform_work_group_size: 1
    .uses_dynamic_stack: false
    .vgpr_count:     14
    .vgpr_spill_count: 0
    .wavefront_size: 32
  - .args:
      - .offset:         0
        .size:           4
        .value_kind:     by_value
      - .offset:         4
        .size:           8
        .value_kind:     by_value
      - .offset:         16
        .size:           8
        .value_kind:     by_value
      - .address_space:  global
        .offset:         24
        .size:           8
        .value_kind:     global_buffer
      - .offset:         32
        .size:           8
        .value_kind:     by_value
      - .offset:         40
        .size:           4
        .value_kind:     by_value
      - .offset:         48
        .size:           8
        .value_kind:     by_value
      - .offset:         56
        .size:           4
        .value_kind:     by_value
    .group_segment_fixed_size: 0
    .kernarg_segment_align: 8
    .kernarg_segment_size: 60
    .language:       OpenCL C
    .language_version:
      - 2
      - 0
    .max_flat_workgroup_size: 256
    .name:           _ZL19rocblas_scal_kernelIiLi256E19rocblas_complex_numIfES1_S1_PS1_EviT3_lT4_lT_li
    .private_segment_fixed_size: 0
    .sgpr_count:     19
    .sgpr_spill_count: 0
    .symbol:         _ZL19rocblas_scal_kernelIiLi256E19rocblas_complex_numIfES1_S1_PS1_EviT3_lT4_lT_li.kd
    .uniform_work_group_size: 1
    .uses_dynamic_stack: false
    .vgpr_count:     12
    .vgpr_spill_count: 0
    .wavefront_size: 32
  - .args:
      - .offset:         0
        .size:           4
        .value_kind:     by_value
      - .address_space:  global
        .offset:         8
        .size:           8
        .value_kind:     global_buffer
      - .offset:         16
        .size:           8
        .value_kind:     by_value
      - .address_space:  global
        .offset:         24
        .size:           8
        .value_kind:     global_buffer
      - .offset:         32
        .size:           8
        .value_kind:     by_value
      - .offset:         40
        .size:           8
        .value_kind:     by_value
      - .offset:         48
        .size:           8
        .value_kind:     by_value
      - .offset:         56
        .size:           4
        .value_kind:     by_value
    .group_segment_fixed_size: 0
    .kernarg_segment_align: 8
    .kernarg_segment_size: 60
    .language:       OpenCL C
    .language_version:
      - 2
      - 0
    .max_flat_workgroup_size: 256
    .name:           _ZL19rocblas_scal_kernelIlLi256E19rocblas_complex_numIfES1_PKS1_PS1_EviT3_lT4_lT_li
    .private_segment_fixed_size: 0
    .sgpr_count:     22
    .sgpr_spill_count: 0
    .symbol:         _ZL19rocblas_scal_kernelIlLi256E19rocblas_complex_numIfES1_PKS1_PS1_EviT3_lT4_lT_li.kd
    .uniform_work_group_size: 1
    .uses_dynamic_stack: false
    .vgpr_count:     14
    .vgpr_spill_count: 0
    .wavefront_size: 32
  - .args:
      - .offset:         0
        .size:           4
        .value_kind:     by_value
      - .offset:         4
        .size:           8
        .value_kind:     by_value
      - .offset:         16
        .size:           8
        .value_kind:     by_value
      - .address_space:  global
        .offset:         24
        .size:           8
        .value_kind:     global_buffer
      - .offset:         32
        .size:           8
        .value_kind:     by_value
      - .offset:         40
        .size:           8
        .value_kind:     by_value
      - .offset:         48
        .size:           8
        .value_kind:     by_value
      - .offset:         56
        .size:           4
        .value_kind:     by_value
    .group_segment_fixed_size: 0
    .kernarg_segment_align: 8
    .kernarg_segment_size: 60
    .language:       OpenCL C
    .language_version:
      - 2
      - 0
    .max_flat_workgroup_size: 256
    .name:           _ZL19rocblas_scal_kernelIlLi256E19rocblas_complex_numIfES1_S1_PS1_EviT3_lT4_lT_li
    .private_segment_fixed_size: 0
    .sgpr_count:     19
    .sgpr_spill_count: 0
    .symbol:         _ZL19rocblas_scal_kernelIlLi256E19rocblas_complex_numIfES1_S1_PS1_EviT3_lT4_lT_li.kd
    .uniform_work_group_size: 1
    .uses_dynamic_stack: false
    .vgpr_count:     12
    .vgpr_spill_count: 0
    .wavefront_size: 32
  - .args:
      - .offset:         0
        .size:           4
        .value_kind:     by_value
      - .address_space:  global
        .offset:         8
        .size:           8
        .value_kind:     global_buffer
      - .offset:         16
        .size:           8
        .value_kind:     by_value
      - .actual_access:  read_only
        .address_space:  global
        .offset:         24
        .size:           8
        .value_kind:     global_buffer
      - .offset:         32
        .size:           8
        .value_kind:     by_value
      - .offset:         40
        .size:           8
        .value_kind:     by_value
      - .offset:         48
        .size:           4
        .value_kind:     by_value
    .group_segment_fixed_size: 0
    .kernarg_segment_align: 8
    .kernarg_segment_size: 52
    .language:       OpenCL C
    .language_version:
      - 2
      - 0
    .max_flat_workgroup_size: 256
    .name:           _ZL22rocblas_sscal_2_kernelILi256E19rocblas_complex_numIfES1_PKS1_PKPS1_EviT2_lT3_lli
    .private_segment_fixed_size: 0
    .sgpr_count:     18
    .sgpr_spill_count: 0
    .symbol:         _ZL22rocblas_sscal_2_kernelILi256E19rocblas_complex_numIfES1_PKS1_PKPS1_EviT2_lT3_lli.kd
    .uniform_work_group_size: 1
    .uses_dynamic_stack: false
    .vgpr_count:     18
    .vgpr_spill_count: 0
    .wavefront_size: 32
  - .args:
      - .offset:         0
        .size:           4
        .value_kind:     by_value
      - .offset:         4
        .size:           8
        .value_kind:     by_value
      - .offset:         16
        .size:           8
        .value_kind:     by_value
      - .actual_access:  read_only
        .address_space:  global
        .offset:         24
        .size:           8
        .value_kind:     global_buffer
      - .offset:         32
        .size:           8
        .value_kind:     by_value
      - .offset:         40
        .size:           8
        .value_kind:     by_value
      - .offset:         48
        .size:           4
        .value_kind:     by_value
    .group_segment_fixed_size: 0
    .kernarg_segment_align: 8
    .kernarg_segment_size: 52
    .language:       OpenCL C
    .language_version:
      - 2
      - 0
    .max_flat_workgroup_size: 256
    .name:           _ZL22rocblas_sscal_2_kernelILi256E19rocblas_complex_numIfES1_S1_PKPS1_EviT2_lT3_lli
    .private_segment_fixed_size: 0
    .sgpr_count:     18
    .sgpr_spill_count: 0
    .symbol:         _ZL22rocblas_sscal_2_kernelILi256E19rocblas_complex_numIfES1_S1_PKPS1_EviT2_lT3_lli.kd
    .uniform_work_group_size: 1
    .uses_dynamic_stack: false
    .vgpr_count:     18
    .vgpr_spill_count: 0
    .wavefront_size: 32
  - .args:
      - .offset:         0
        .size:           4
        .value_kind:     by_value
      - .address_space:  global
        .offset:         8
        .size:           8
        .value_kind:     global_buffer
      - .offset:         16
        .size:           8
        .value_kind:     by_value
      - .address_space:  global
        .offset:         24
        .size:           8
        .value_kind:     global_buffer
      - .offset:         32
        .size:           8
        .value_kind:     by_value
      - .offset:         40
        .size:           4
        .value_kind:     by_value
      - .offset:         48
        .size:           8
        .value_kind:     by_value
      - .offset:         56
        .size:           4
        .value_kind:     by_value
    .group_segment_fixed_size: 0
    .kernarg_segment_align: 8
    .kernarg_segment_size: 60
    .language:       OpenCL C
    .language_version:
      - 2
      - 0
    .max_flat_workgroup_size: 256
    .name:           _ZL19rocblas_scal_kernelIiLi256E19rocblas_complex_numIfES1_PKS1_PKPS1_EviT3_lT4_lT_li
    .private_segment_fixed_size: 0
    .sgpr_count:     18
    .sgpr_spill_count: 0
    .symbol:         _ZL19rocblas_scal_kernelIiLi256E19rocblas_complex_numIfES1_PKS1_PKPS1_EviT3_lT4_lT_li.kd
    .uniform_work_group_size: 1
    .uses_dynamic_stack: false
    .vgpr_count:     14
    .vgpr_spill_count: 0
    .wavefront_size: 32
  - .args:
      - .offset:         0
        .size:           4
        .value_kind:     by_value
      - .offset:         4
        .size:           8
        .value_kind:     by_value
      - .offset:         16
        .size:           8
        .value_kind:     by_value
      - .address_space:  global
        .offset:         24
        .size:           8
        .value_kind:     global_buffer
      - .offset:         32
        .size:           8
        .value_kind:     by_value
      - .offset:         40
        .size:           4
        .value_kind:     by_value
      - .offset:         48
        .size:           8
        .value_kind:     by_value
      - .offset:         56
        .size:           4
        .value_kind:     by_value
    .group_segment_fixed_size: 0
    .kernarg_segment_align: 8
    .kernarg_segment_size: 60
    .language:       OpenCL C
    .language_version:
      - 2
      - 0
    .max_flat_workgroup_size: 256
    .name:           _ZL19rocblas_scal_kernelIiLi256E19rocblas_complex_numIfES1_S1_PKPS1_EviT3_lT4_lT_li
    .private_segment_fixed_size: 0
    .sgpr_count:     18
    .sgpr_spill_count: 0
    .symbol:         _ZL19rocblas_scal_kernelIiLi256E19rocblas_complex_numIfES1_S1_PKPS1_EviT3_lT4_lT_li.kd
    .uniform_work_group_size: 1
    .uses_dynamic_stack: false
    .vgpr_count:     12
    .vgpr_spill_count: 0
    .wavefront_size: 32
  - .args:
      - .offset:         0
        .size:           4
        .value_kind:     by_value
      - .address_space:  global
        .offset:         8
        .size:           8
        .value_kind:     global_buffer
      - .offset:         16
        .size:           8
        .value_kind:     by_value
      - .address_space:  global
        .offset:         24
        .size:           8
        .value_kind:     global_buffer
      - .offset:         32
        .size:           8
        .value_kind:     by_value
      - .offset:         40
        .size:           8
        .value_kind:     by_value
      - .offset:         48
        .size:           8
        .value_kind:     by_value
      - .offset:         56
        .size:           4
        .value_kind:     by_value
    .group_segment_fixed_size: 0
    .kernarg_segment_align: 8
    .kernarg_segment_size: 60
    .language:       OpenCL C
    .language_version:
      - 2
      - 0
    .max_flat_workgroup_size: 256
    .name:           _ZL19rocblas_scal_kernelIlLi256E19rocblas_complex_numIfES1_PKS1_PKPS1_EviT3_lT4_lT_li
    .private_segment_fixed_size: 0
    .sgpr_count:     18
    .sgpr_spill_count: 0
    .symbol:         _ZL19rocblas_scal_kernelIlLi256E19rocblas_complex_numIfES1_PKS1_PKPS1_EviT3_lT4_lT_li.kd
    .uniform_work_group_size: 1
    .uses_dynamic_stack: false
    .vgpr_count:     14
    .vgpr_spill_count: 0
    .wavefront_size: 32
  - .args:
      - .offset:         0
        .size:           4
        .value_kind:     by_value
      - .offset:         4
        .size:           8
        .value_kind:     by_value
      - .offset:         16
        .size:           8
        .value_kind:     by_value
      - .address_space:  global
        .offset:         24
        .size:           8
        .value_kind:     global_buffer
      - .offset:         32
        .size:           8
        .value_kind:     by_value
      - .offset:         40
        .size:           8
        .value_kind:     by_value
      - .offset:         48
        .size:           8
        .value_kind:     by_value
      - .offset:         56
        .size:           4
        .value_kind:     by_value
    .group_segment_fixed_size: 0
    .kernarg_segment_align: 8
    .kernarg_segment_size: 60
    .language:       OpenCL C
    .language_version:
      - 2
      - 0
    .max_flat_workgroup_size: 256
    .name:           _ZL19rocblas_scal_kernelIlLi256E19rocblas_complex_numIfES1_S1_PKPS1_EviT3_lT4_lT_li
    .private_segment_fixed_size: 0
    .sgpr_count:     18
    .sgpr_spill_count: 0
    .symbol:         _ZL19rocblas_scal_kernelIlLi256E19rocblas_complex_numIfES1_S1_PKPS1_EviT3_lT4_lT_li.kd
    .uniform_work_group_size: 1
    .uses_dynamic_stack: false
    .vgpr_count:     12
    .vgpr_spill_count: 0
    .wavefront_size: 32
amdhsa.target:   amdgcn-amd-amdhsa--gfx1250
amdhsa.version:
  - 1
  - 2
...

	.end_amdgpu_metadata
